;; amdgpu-corpus repo=ROCm/rocFFT kind=compiled arch=gfx906 opt=O3
	.text
	.amdgcn_target "amdgcn-amd-amdhsa--gfx906"
	.amdhsa_code_object_version 6
	.protected	fft_rtc_back_len975_factors_13_5_3_5_wgs_117_tpt_39_halfLds_dp_ip_CI_unitstride_sbrr_dirReg ; -- Begin function fft_rtc_back_len975_factors_13_5_3_5_wgs_117_tpt_39_halfLds_dp_ip_CI_unitstride_sbrr_dirReg
	.globl	fft_rtc_back_len975_factors_13_5_3_5_wgs_117_tpt_39_halfLds_dp_ip_CI_unitstride_sbrr_dirReg
	.p2align	8
	.type	fft_rtc_back_len975_factors_13_5_3_5_wgs_117_tpt_39_halfLds_dp_ip_CI_unitstride_sbrr_dirReg,@function
fft_rtc_back_len975_factors_13_5_3_5_wgs_117_tpt_39_halfLds_dp_ip_CI_unitstride_sbrr_dirReg: ; @fft_rtc_back_len975_factors_13_5_3_5_wgs_117_tpt_39_halfLds_dp_ip_CI_unitstride_sbrr_dirReg
; %bb.0:
	v_mul_u32_u24_e32 v1, 0x691, v0
	s_load_dwordx2 s[12:13], s[4:5], 0x50
	s_load_dwordx4 s[8:11], s[4:5], 0x0
	s_load_dwordx2 s[2:3], s[4:5], 0x18
	v_lshrrev_b32_e32 v1, 16, v1
	v_mad_u64_u32 v[108:109], s[0:1], s6, 3, v[1:2]
	v_mov_b32_e32 v3, 0
	s_waitcnt lgkmcnt(0)
	v_cmp_lt_u64_e64 s[0:1], s[10:11], 2
	v_mov_b32_e32 v109, v3
	v_mov_b32_e32 v1, 0
	;; [unrolled: 1-line block ×3, first 2 shown]
	s_and_b64 vcc, exec, s[0:1]
	v_mov_b32_e32 v2, 0
	v_mov_b32_e32 v8, v109
	s_cbranch_vccnz .LBB0_8
; %bb.1:
	s_load_dwordx2 s[0:1], s[4:5], 0x10
	s_add_u32 s6, s2, 8
	s_addc_u32 s7, s3, 0
	v_mov_b32_e32 v1, 0
	v_mov_b32_e32 v5, v108
	s_waitcnt lgkmcnt(0)
	s_add_u32 s16, s0, 8
	s_mov_b64 s[14:15], 1
	v_mov_b32_e32 v2, 0
	s_addc_u32 s17, s1, 0
	v_mov_b32_e32 v6, v109
.LBB0_2:                                ; =>This Inner Loop Header: Depth=1
	s_load_dwordx2 s[18:19], s[16:17], 0x0
                                        ; implicit-def: $vgpr7_vgpr8
	s_waitcnt lgkmcnt(0)
	v_or_b32_e32 v4, s19, v6
	v_cmp_ne_u64_e32 vcc, 0, v[3:4]
	s_and_saveexec_b64 s[0:1], vcc
	s_xor_b64 s[20:21], exec, s[0:1]
	s_cbranch_execz .LBB0_4
; %bb.3:                                ;   in Loop: Header=BB0_2 Depth=1
	v_cvt_f32_u32_e32 v4, s18
	v_cvt_f32_u32_e32 v7, s19
	s_sub_u32 s0, 0, s18
	s_subb_u32 s1, 0, s19
	v_mac_f32_e32 v4, 0x4f800000, v7
	v_rcp_f32_e32 v4, v4
	v_mul_f32_e32 v4, 0x5f7ffffc, v4
	v_mul_f32_e32 v7, 0x2f800000, v4
	v_trunc_f32_e32 v7, v7
	v_mac_f32_e32 v4, 0xcf800000, v7
	v_cvt_u32_f32_e32 v7, v7
	v_cvt_u32_f32_e32 v4, v4
	v_mul_lo_u32 v8, s0, v7
	v_mul_hi_u32 v9, s0, v4
	v_mul_lo_u32 v11, s1, v4
	v_mul_lo_u32 v10, s0, v4
	v_add_u32_e32 v8, v9, v8
	v_add_u32_e32 v8, v8, v11
	v_mul_hi_u32 v9, v4, v10
	v_mul_lo_u32 v11, v4, v8
	v_mul_hi_u32 v13, v4, v8
	v_mul_hi_u32 v12, v7, v10
	v_mul_lo_u32 v10, v7, v10
	v_mul_hi_u32 v14, v7, v8
	v_add_co_u32_e32 v9, vcc, v9, v11
	v_addc_co_u32_e32 v11, vcc, 0, v13, vcc
	v_mul_lo_u32 v8, v7, v8
	v_add_co_u32_e32 v9, vcc, v9, v10
	v_addc_co_u32_e32 v9, vcc, v11, v12, vcc
	v_addc_co_u32_e32 v10, vcc, 0, v14, vcc
	v_add_co_u32_e32 v8, vcc, v9, v8
	v_addc_co_u32_e32 v9, vcc, 0, v10, vcc
	v_add_co_u32_e32 v4, vcc, v4, v8
	v_addc_co_u32_e32 v7, vcc, v7, v9, vcc
	v_mul_lo_u32 v8, s0, v7
	v_mul_hi_u32 v9, s0, v4
	v_mul_lo_u32 v10, s1, v4
	v_mul_lo_u32 v11, s0, v4
	v_add_u32_e32 v8, v9, v8
	v_add_u32_e32 v8, v8, v10
	v_mul_lo_u32 v12, v4, v8
	v_mul_hi_u32 v13, v4, v11
	v_mul_hi_u32 v14, v4, v8
	;; [unrolled: 1-line block ×3, first 2 shown]
	v_mul_lo_u32 v11, v7, v11
	v_mul_hi_u32 v9, v7, v8
	v_add_co_u32_e32 v12, vcc, v13, v12
	v_addc_co_u32_e32 v13, vcc, 0, v14, vcc
	v_mul_lo_u32 v8, v7, v8
	v_add_co_u32_e32 v11, vcc, v12, v11
	v_addc_co_u32_e32 v10, vcc, v13, v10, vcc
	v_addc_co_u32_e32 v9, vcc, 0, v9, vcc
	v_add_co_u32_e32 v8, vcc, v10, v8
	v_addc_co_u32_e32 v9, vcc, 0, v9, vcc
	v_add_co_u32_e32 v4, vcc, v4, v8
	v_addc_co_u32_e32 v9, vcc, v7, v9, vcc
	v_mad_u64_u32 v[7:8], s[0:1], v5, v9, 0
	v_mul_hi_u32 v10, v5, v4
	v_add_co_u32_e32 v11, vcc, v10, v7
	v_addc_co_u32_e32 v12, vcc, 0, v8, vcc
	v_mad_u64_u32 v[7:8], s[0:1], v6, v4, 0
	v_mad_u64_u32 v[9:10], s[0:1], v6, v9, 0
	v_add_co_u32_e32 v4, vcc, v11, v7
	v_addc_co_u32_e32 v4, vcc, v12, v8, vcc
	v_addc_co_u32_e32 v7, vcc, 0, v10, vcc
	v_add_co_u32_e32 v4, vcc, v4, v9
	v_addc_co_u32_e32 v9, vcc, 0, v7, vcc
	v_mul_lo_u32 v10, s19, v4
	v_mul_lo_u32 v11, s18, v9
	v_mad_u64_u32 v[7:8], s[0:1], s18, v4, 0
	v_add3_u32 v8, v8, v11, v10
	v_sub_u32_e32 v10, v6, v8
	v_mov_b32_e32 v11, s19
	v_sub_co_u32_e32 v7, vcc, v5, v7
	v_subb_co_u32_e64 v10, s[0:1], v10, v11, vcc
	v_subrev_co_u32_e64 v11, s[0:1], s18, v7
	v_subbrev_co_u32_e64 v10, s[0:1], 0, v10, s[0:1]
	v_cmp_le_u32_e64 s[0:1], s19, v10
	v_cndmask_b32_e64 v12, 0, -1, s[0:1]
	v_cmp_le_u32_e64 s[0:1], s18, v11
	v_cndmask_b32_e64 v11, 0, -1, s[0:1]
	v_cmp_eq_u32_e64 s[0:1], s19, v10
	v_cndmask_b32_e64 v10, v12, v11, s[0:1]
	v_add_co_u32_e64 v11, s[0:1], 2, v4
	v_addc_co_u32_e64 v12, s[0:1], 0, v9, s[0:1]
	v_add_co_u32_e64 v13, s[0:1], 1, v4
	v_addc_co_u32_e64 v14, s[0:1], 0, v9, s[0:1]
	v_subb_co_u32_e32 v8, vcc, v6, v8, vcc
	v_cmp_ne_u32_e64 s[0:1], 0, v10
	v_cmp_le_u32_e32 vcc, s19, v8
	v_cndmask_b32_e64 v10, v14, v12, s[0:1]
	v_cndmask_b32_e64 v12, 0, -1, vcc
	v_cmp_le_u32_e32 vcc, s18, v7
	v_cndmask_b32_e64 v7, 0, -1, vcc
	v_cmp_eq_u32_e32 vcc, s19, v8
	v_cndmask_b32_e32 v7, v12, v7, vcc
	v_cmp_ne_u32_e32 vcc, 0, v7
	v_cndmask_b32_e64 v7, v13, v11, s[0:1]
	v_cndmask_b32_e32 v8, v9, v10, vcc
	v_cndmask_b32_e32 v7, v4, v7, vcc
.LBB0_4:                                ;   in Loop: Header=BB0_2 Depth=1
	s_andn2_saveexec_b64 s[0:1], s[20:21]
	s_cbranch_execz .LBB0_6
; %bb.5:                                ;   in Loop: Header=BB0_2 Depth=1
	v_cvt_f32_u32_e32 v4, s18
	s_sub_i32 s20, 0, s18
	v_rcp_iflag_f32_e32 v4, v4
	v_mul_f32_e32 v4, 0x4f7ffffe, v4
	v_cvt_u32_f32_e32 v4, v4
	v_mul_lo_u32 v7, s20, v4
	v_mul_hi_u32 v7, v4, v7
	v_add_u32_e32 v4, v4, v7
	v_mul_hi_u32 v4, v5, v4
	v_mul_lo_u32 v7, v4, s18
	v_add_u32_e32 v8, 1, v4
	v_sub_u32_e32 v7, v5, v7
	v_subrev_u32_e32 v9, s18, v7
	v_cmp_le_u32_e32 vcc, s18, v7
	v_cndmask_b32_e32 v7, v7, v9, vcc
	v_cndmask_b32_e32 v4, v4, v8, vcc
	v_add_u32_e32 v8, 1, v4
	v_cmp_le_u32_e32 vcc, s18, v7
	v_cndmask_b32_e32 v7, v4, v8, vcc
	v_mov_b32_e32 v8, v3
.LBB0_6:                                ;   in Loop: Header=BB0_2 Depth=1
	s_or_b64 exec, exec, s[0:1]
	v_mul_lo_u32 v4, v8, s18
	v_mul_lo_u32 v11, v7, s19
	v_mad_u64_u32 v[9:10], s[0:1], v7, s18, 0
	s_load_dwordx2 s[0:1], s[6:7], 0x0
	s_add_u32 s14, s14, 1
	v_add3_u32 v4, v10, v11, v4
	v_sub_co_u32_e32 v5, vcc, v5, v9
	v_subb_co_u32_e32 v4, vcc, v6, v4, vcc
	s_waitcnt lgkmcnt(0)
	v_mul_lo_u32 v4, s0, v4
	v_mul_lo_u32 v6, s1, v5
	v_mad_u64_u32 v[1:2], s[0:1], s0, v5, v[1:2]
	s_addc_u32 s15, s15, 0
	s_add_u32 s6, s6, 8
	v_add3_u32 v2, v6, v2, v4
	v_mov_b32_e32 v4, s10
	v_mov_b32_e32 v5, s11
	s_addc_u32 s7, s7, 0
	v_cmp_ge_u64_e32 vcc, s[14:15], v[4:5]
	s_add_u32 s16, s16, 8
	s_addc_u32 s17, s17, 0
	s_cbranch_vccnz .LBB0_8
; %bb.7:                                ;   in Loop: Header=BB0_2 Depth=1
	v_mov_b32_e32 v5, v7
	v_mov_b32_e32 v6, v8
	s_branch .LBB0_2
.LBB0_8:
	s_lshl_b64 s[0:1], s[10:11], 3
	s_add_u32 s0, s2, s0
	s_addc_u32 s1, s3, s1
	s_load_dwordx2 s[2:3], s[0:1], 0x0
	s_load_dwordx2 s[6:7], s[4:5], 0x20
                                        ; implicit-def: $vgpr34_vgpr35
                                        ; implicit-def: $vgpr30_vgpr31
                                        ; implicit-def: $vgpr26_vgpr27
                                        ; implicit-def: $vgpr22_vgpr23
                                        ; implicit-def: $vgpr14_vgpr15
                                        ; implicit-def: $vgpr10_vgpr11
                                        ; implicit-def: $vgpr18_vgpr19
                                        ; implicit-def: $vgpr38_vgpr39
                                        ; implicit-def: $vgpr42_vgpr43
                                        ; implicit-def: $vgpr50_vgpr51
                                        ; implicit-def: $vgpr46_vgpr47
                                        ; implicit-def: $vgpr86_vgpr87
                                        ; implicit-def: $vgpr82_vgpr83
                                        ; implicit-def: $vgpr90_vgpr91
                                        ; implicit-def: $vgpr74_vgpr75
                                        ; implicit-def: $vgpr66_vgpr67
                                        ; implicit-def: $vgpr58_vgpr59
                                        ; implicit-def: $vgpr54_vgpr55
                                        ; implicit-def: $vgpr62_vgpr63
                                        ; implicit-def: $vgpr70_vgpr71
                                        ; implicit-def: $vgpr94_vgpr95
                                        ; implicit-def: $vgpr98_vgpr99
                                        ; implicit-def: $vgpr102_vgpr103
                                        ; implicit-def: $vgpr78_vgpr79
	s_waitcnt lgkmcnt(0)
	v_mad_u64_u32 v[1:2], s[0:1], s2, v7, v[1:2]
	v_mul_lo_u32 v3, s2, v8
	v_mul_lo_u32 v4, s3, v7
	s_mov_b32 s0, 0x6906907
	v_mul_hi_u32 v5, v0, s0
	v_cmp_gt_u64_e32 vcc, s[6:7], v[7:8]
	v_add3_u32 v2, v4, v2, v3
	v_lshlrev_b64 v[106:107], 4, v[1:2]
	v_mul_u32_u24_e32 v3, 39, v5
	v_sub_u32_e32 v104, v0, v3
                                        ; implicit-def: $vgpr6_vgpr7
                                        ; implicit-def: $vgpr2_vgpr3
	s_and_saveexec_b64 s[2:3], vcc
	s_cbranch_execz .LBB0_12
; %bb.9:
	v_mov_b32_e32 v105, 0
	v_mov_b32_e32 v0, s13
	v_add_co_u32_e64 v2, s[0:1], s12, v106
	v_addc_co_u32_e64 v3, s[0:1], v0, v107, s[0:1]
	v_lshlrev_b64 v[0:1], 4, v[104:105]
                                        ; implicit-def: $vgpr44_vgpr45
                                        ; implicit-def: $vgpr48_vgpr49
                                        ; implicit-def: $vgpr40_vgpr41
                                        ; implicit-def: $vgpr36_vgpr37
                                        ; implicit-def: $vgpr16_vgpr17
                                        ; implicit-def: $vgpr8_vgpr9
                                        ; implicit-def: $vgpr4_vgpr5
                                        ; implicit-def: $vgpr12_vgpr13
                                        ; implicit-def: $vgpr20_vgpr21
                                        ; implicit-def: $vgpr24_vgpr25
                                        ; implicit-def: $vgpr28_vgpr29
                                        ; implicit-def: $vgpr32_vgpr33
	v_add_co_u32_e64 v109, s[0:1], v2, v0
	v_addc_co_u32_e64 v110, s[0:1], v3, v1, s[0:1]
	s_movk_i32 s0, 0x1000
	v_add_co_u32_e64 v111, s[0:1], s0, v109
	v_addc_co_u32_e64 v112, s[0:1], 0, v110, s[0:1]
	s_movk_i32 s0, 0x2000
	;; [unrolled: 3-line block ×3, first 2 shown]
	global_load_dwordx4 v[76:79], v[109:110], off
	global_load_dwordx4 v[100:103], v[109:110], off offset:1200
	global_load_dwordx4 v[96:99], v[109:110], off offset:2400
	;; [unrolled: 1-line block ×9, first 2 shown]
	v_add_co_u32_e64 v115, s[0:1], s0, v109
	v_addc_co_u32_e64 v116, s[0:1], 0, v110, s[0:1]
	global_load_dwordx4 v[88:91], v[113:114], off offset:3808
	global_load_dwordx4 v[80:83], v[115:116], off offset:912
	global_load_dwordx4 v[84:87], v[115:116], off offset:2112
	v_cmp_gt_u32_e64 s[0:1], 36, v104
                                        ; implicit-def: $vgpr0_vgpr1
	s_and_saveexec_b64 s[4:5], s[0:1]
	s_cbranch_execz .LBB0_11
; %bb.10:
	global_load_dwordx4 v[0:3], v[109:110], off offset:624
	global_load_dwordx4 v[44:47], v[109:110], off offset:1824
	;; [unrolled: 1-line block ×13, first 2 shown]
.LBB0_11:
	s_or_b64 exec, exec, s[4:5]
.LBB0_12:
	s_or_b64 exec, exec, s[2:3]
	s_waitcnt vmcnt(11)
	v_add_f64 v[109:110], v[100:101], v[76:77]
	s_waitcnt vmcnt(0)
	v_add_f64 v[113:114], v[102:103], -v[86:87]
	s_mov_b32 s28, 0x4267c47c
	s_mov_b32 s29, 0xbfddbe06
	v_add_f64 v[117:118], v[84:85], v[100:101]
	v_add_f64 v[115:116], v[98:99], -v[82:83]
	s_mov_b32 s2, 0xe00740e9
	s_mov_b32 s26, 0x42a4c3d2
	v_add_f64 v[109:110], v[96:97], v[109:110]
	v_mul_f64 v[121:122], v[113:114], s[28:29]
	s_mov_b32 s3, 0x3fec55a7
	s_mov_b32 s27, 0xbfea55e2
	v_add_f64 v[123:124], v[80:81], v[96:97]
	v_add_f64 v[119:120], v[94:95], -v[90:91]
	v_mul_f64 v[127:128], v[115:116], s[26:27]
	s_mov_b32 s4, 0x1ea71119
	v_add_f64 v[109:110], v[92:93], v[109:110]
	v_fma_f64 v[129:130], v[117:118], s[2:3], v[121:122]
	s_mov_b32 s24, 0x66966769
	s_mov_b32 s5, 0x3fe22d96
	;; [unrolled: 1-line block ×3, first 2 shown]
	v_add_f64 v[131:132], v[88:89], v[92:93]
	v_add_f64 v[125:126], v[70:71], -v[74:75]
	v_mul_f64 v[133:134], v[119:120], s[24:25]
	v_add_f64 v[109:110], v[68:69], v[109:110]
	v_fma_f64 v[135:136], v[123:124], s[4:5], v[127:128]
	v_add_f64 v[129:130], v[76:77], v[129:130]
	s_mov_b32 s6, 0xebaa3ed8
	s_mov_b32 s18, 0x2ef20147
	;; [unrolled: 1-line block ×4, first 2 shown]
	v_add_f64 v[111:112], v[72:73], v[68:69]
	v_add_f64 v[109:110], v[60:61], v[109:110]
	v_add_f64 v[139:140], v[62:63], -v[66:67]
	v_mul_f64 v[141:142], v[125:126], s[18:19]
	v_fma_f64 v[143:144], v[131:132], s[6:7], v[133:134]
	v_add_f64 v[129:130], v[135:136], v[129:130]
	s_mov_b32 s10, 0xb2365da1
	s_mov_b32 s22, 0x24c2f84
	;; [unrolled: 1-line block ×3, first 2 shown]
	v_add_f64 v[137:138], v[52:53], v[109:110]
	s_mov_b32 s23, 0xbfe5384d
	v_add_f64 v[109:110], v[64:65], v[60:61]
	v_mul_f64 v[146:147], v[139:140], s[22:23]
	v_mul_f64 v[148:149], v[113:114], s[26:27]
	v_fma_f64 v[150:151], v[111:112], s[10:11], v[141:142]
	v_add_f64 v[129:130], v[143:144], v[129:130]
	v_mul_f64 v[143:144], v[113:114], s[24:25]
	v_add_f64 v[135:136], v[56:57], v[137:138]
	v_add_f64 v[137:138], v[54:55], -v[58:59]
	s_mov_b32 s14, 0xd0032e0c
	s_mov_b32 s20, 0x4bc48dbf
	;; [unrolled: 1-line block ×4, first 2 shown]
	v_add_f64 v[152:153], v[56:57], v[52:53]
	v_fma_f64 v[156:157], v[109:110], s[14:15], v[146:147]
	v_add_f64 v[135:136], v[64:65], v[135:136]
	v_mul_f64 v[154:155], v[137:138], s[20:21]
	v_fma_f64 v[158:159], v[117:118], s[4:5], v[148:149]
	v_add_f64 v[129:130], v[150:151], v[129:130]
	v_mul_f64 v[150:151], v[115:116], s[18:19]
	v_fma_f64 v[160:161], v[117:118], s[6:7], v[143:144]
	v_mul_f64 v[162:163], v[115:116], s[20:21]
	s_mov_b32 s16, 0x93053d00
	v_add_f64 v[135:136], v[72:73], v[135:136]
	s_mov_b32 s17, 0xbfef11f4
	s_mov_b32 s43, 0x3fedeba7
	;; [unrolled: 1-line block ×3, first 2 shown]
	v_fma_f64 v[164:165], v[152:153], s[16:17], v[154:155]
	v_add_f64 v[158:159], v[76:77], v[158:159]
	v_add_f64 v[129:130], v[156:157], v[129:130]
	v_fma_f64 v[156:157], v[123:124], s[10:11], v[150:151]
	v_add_f64 v[135:136], v[88:89], v[135:136]
	v_add_f64 v[160:161], v[76:77], v[160:161]
	v_fma_f64 v[166:167], v[123:124], s[16:17], v[162:163]
	v_mul_f64 v[168:169], v[119:120], s[20:21]
	v_mul_f64 v[170:171], v[119:120], s[42:43]
	s_mov_b32 s39, 0x3fe5384d
	v_add_f64 v[164:165], v[164:165], v[129:130]
	s_mov_b32 s38, s22
	v_add_f64 v[129:130], v[80:81], v[135:136]
	v_add_f64 v[135:136], v[156:157], v[158:159]
	v_add_f64 v[156:157], v[166:167], v[160:161]
	v_fma_f64 v[158:159], v[131:132], s[16:17], v[168:169]
	v_fma_f64 v[160:161], v[131:132], s[10:11], v[170:171]
	s_mov_b32 s35, 0x3fddbe06
	s_mov_b32 s34, s28
	v_mul_f64 v[166:167], v[125:126], s[38:39]
	v_mul_f64 v[172:173], v[125:126], s[34:35]
	v_add_f64 v[174:175], v[84:85], v[129:130]
	s_mov_b32 s31, 0x3fefc445
	v_add_f64 v[129:130], v[158:159], v[135:136]
	v_add_f64 v[135:136], v[160:161], v[156:157]
	v_mul_f64 v[156:157], v[113:114], s[18:19]
	v_mul_f64 v[160:161], v[113:114], s[22:23]
	s_mov_b32 s30, s24
	v_fma_f64 v[158:159], v[111:112], s[14:15], v[166:167]
	v_fma_f64 v[176:177], v[111:112], s[2:3], v[172:173]
	v_mul_f64 v[178:179], v[139:140], s[30:31]
	v_mul_f64 v[180:181], v[139:140], s[26:27]
	;; [unrolled: 1-line block ×3, first 2 shown]
	v_fma_f64 v[182:183], v[117:118], s[10:11], v[156:157]
	v_fma_f64 v[186:187], v[117:118], s[14:15], v[160:161]
	v_mul_f64 v[188:189], v[115:116], s[30:31]
	v_add_f64 v[129:130], v[158:159], v[129:130]
	v_add_f64 v[135:136], v[176:177], v[135:136]
	v_fma_f64 v[158:159], v[109:110], s[6:7], v[178:179]
	v_fma_f64 v[176:177], v[109:110], s[4:5], v[180:181]
	;; [unrolled: 1-line block ×3, first 2 shown]
	v_add_f64 v[182:183], v[76:77], v[182:183]
	v_add_f64 v[186:187], v[76:77], v[186:187]
	v_fma_f64 v[192:193], v[123:124], s[6:7], v[188:189]
	v_mul_f64 v[194:195], v[119:120], s[34:35]
	v_mul_f64 v[198:199], v[137:138], s[34:35]
	v_add_f64 v[129:130], v[158:159], v[129:130]
	v_add_f64 v[135:136], v[176:177], v[135:136]
	v_mul_f64 v[200:201], v[137:138], s[22:23]
	v_add_f64 v[158:159], v[190:191], v[182:183]
	v_mul_f64 v[113:114], v[113:114], s[20:21]
	v_add_f64 v[176:177], v[192:193], v[186:187]
	v_fma_f64 v[182:183], v[131:132], s[2:3], v[194:195]
	v_mul_f64 v[186:187], v[125:126], s[24:25]
	v_fma_f64 v[206:207], v[152:153], s[2:3], v[198:199]
	v_mul_f64 v[115:116], v[115:116], s[34:35]
	v_fma_f64 v[208:209], v[152:153], s[14:15], v[200:201]
	v_mul_f64 v[196:197], v[119:120], s[26:27]
	s_mov_b32 s41, 0x3fcea1e5
	s_mov_b32 s40, s20
	v_add_f64 v[158:159], v[182:183], v[158:159]
	v_fma_f64 v[182:183], v[111:112], s[6:7], v[186:187]
	v_add_f64 v[206:207], v[206:207], v[129:130]
	v_mul_f64 v[192:193], v[125:126], s[40:41]
	v_add_f64 v[208:209], v[208:209], v[135:136]
	v_fma_f64 v[135:136], v[123:124], s[2:3], v[115:116]
	v_fma_f64 v[190:191], v[131:132], s[4:5], v[196:197]
	v_mul_f64 v[119:120], v[119:120], s[22:23]
	v_fma_f64 v[156:157], v[117:118], s[10:11], -v[156:157]
	v_add_f64 v[158:159], v[182:183], v[158:159]
	v_fma_f64 v[182:183], v[117:118], s[16:17], v[113:114]
	v_fma_f64 v[113:114], v[117:118], s[16:17], -v[113:114]
	v_fma_f64 v[115:116], v[123:124], s[2:3], -v[115:116]
	s_mov_b32 s37, 0x3fea55e2
	s_mov_b32 s36, s26
	v_add_f64 v[176:177], v[190:191], v[176:177]
	v_fma_f64 v[202:203], v[111:112], s[16:17], v[192:193]
	v_mul_f64 v[204:205], v[139:140], s[34:35]
	v_add_f64 v[129:130], v[76:77], v[182:183]
	v_add_f64 v[113:114], v[76:77], v[113:114]
	v_mul_f64 v[125:126], v[125:126], s[36:37]
	v_add_f64 v[156:157], v[76:77], v[156:157]
	v_fma_f64 v[182:183], v[123:124], s[14:15], -v[184:185]
	v_fma_f64 v[184:185], v[123:124], s[6:7], -v[188:189]
	v_mul_f64 v[190:191], v[139:140], s[40:41]
	v_add_f64 v[176:177], v[202:203], v[176:177]
	v_add_f64 v[129:130], v[135:136], v[129:130]
	v_fma_f64 v[135:136], v[117:118], s[14:15], -v[160:161]
	v_fma_f64 v[160:161], v[131:132], s[14:15], v[119:120]
	v_add_f64 v[113:114], v[115:116], v[113:114]
	v_fma_f64 v[119:120], v[131:132], s[14:15], -v[119:120]
	v_fma_f64 v[202:203], v[109:110], s[2:3], v[204:205]
	v_mul_f64 v[139:140], v[139:140], s[18:19]
	v_add_f64 v[156:157], v[182:183], v[156:157]
	v_fma_f64 v[182:183], v[131:132], s[4:5], -v[196:197]
	v_add_f64 v[135:136], v[76:77], v[135:136]
	v_add_f64 v[115:116], v[160:161], v[129:130]
	v_fma_f64 v[129:130], v[111:112], s[4:5], v[125:126]
	v_fma_f64 v[160:161], v[131:132], s[2:3], -v[194:195]
	v_add_f64 v[113:114], v[119:120], v[113:114]
	v_fma_f64 v[119:120], v[111:112], s[4:5], -v[125:126]
	v_fma_f64 v[210:211], v[109:110], s[16:17], v[190:191]
	v_add_f64 v[176:177], v[202:203], v[176:177]
	v_add_f64 v[135:136], v[184:185], v[135:136]
	v_mul_f64 v[184:185], v[137:138], s[18:19]
	v_mul_f64 v[188:189], v[137:138], s[36:37]
	v_add_f64 v[115:116], v[129:130], v[115:116]
	v_fma_f64 v[125:126], v[109:110], s[10:11], v[139:140]
	v_mul_f64 v[129:130], v[137:138], s[30:31]
	v_add_f64 v[137:138], v[160:161], v[156:157]
	v_fma_f64 v[156:157], v[111:112], s[6:7], -v[186:187]
	v_add_f64 v[135:136], v[182:183], v[135:136]
	v_fma_f64 v[160:161], v[111:112], s[16:17], -v[192:193]
	v_fma_f64 v[186:187], v[152:153], s[10:11], v[184:185]
	v_add_f64 v[113:114], v[119:120], v[113:114]
	v_fma_f64 v[119:120], v[109:110], s[10:11], -v[139:140]
	v_add_f64 v[158:159], v[210:211], v[158:159]
	v_fma_f64 v[182:183], v[152:153], s[4:5], v[188:189]
	v_add_f64 v[115:116], v[125:126], v[115:116]
	v_fma_f64 v[125:126], v[152:153], s[6:7], v[129:130]
	v_add_f64 v[137:138], v[156:157], v[137:138]
	v_add_f64 v[135:136], v[160:161], v[135:136]
	v_fma_f64 v[156:157], v[109:110], s[2:3], -v[204:205]
	v_add_f64 v[160:161], v[186:187], v[176:177]
	v_add_f64 v[176:177], v[119:120], v[113:114]
	v_add_f64 v[113:114], v[46:47], -v[34:35]
	v_fma_f64 v[139:140], v[109:110], s[16:17], -v[190:191]
	v_add_f64 v[158:159], v[182:183], v[158:159]
	v_add_f64 v[182:183], v[125:126], v[115:116]
	v_fma_f64 v[186:187], v[152:153], s[6:7], -v[129:130]
	v_add_f64 v[156:157], v[156:157], v[135:136]
	v_fma_f64 v[125:126], v[117:118], s[2:3], -v[121:122]
	v_fma_f64 v[129:130], v[117:118], s[4:5], -v[148:149]
	v_add_f64 v[121:122], v[32:33], v[44:45]
	v_mul_f64 v[119:120], v[113:114], s[28:29]
	v_add_f64 v[115:116], v[50:51], -v[30:31]
	v_fma_f64 v[135:136], v[117:118], s[6:7], -v[143:144]
	v_add_f64 v[190:191], v[139:140], v[137:138]
	v_fma_f64 v[139:140], v[123:124], s[4:5], -v[127:128]
	v_add_f64 v[137:138], v[76:77], v[125:126]
	v_add_f64 v[129:130], v[76:77], v[129:130]
	v_fma_f64 v[143:144], v[123:124], s[10:11], -v[150:151]
	v_fma_f64 v[150:151], v[121:122], s[2:3], -v[119:120]
	v_add_f64 v[127:128], v[28:29], v[48:49]
	v_mul_f64 v[125:126], v[115:116], s[26:27]
	v_fma_f64 v[123:124], v[123:124], s[16:17], -v[162:163]
	v_add_f64 v[117:118], v[42:43], -v[26:27]
	v_add_f64 v[76:77], v[76:77], v[135:136]
	v_add_f64 v[137:138], v[139:140], v[137:138]
	;; [unrolled: 1-line block ×3, first 2 shown]
	v_fma_f64 v[143:144], v[131:132], s[16:17], -v[168:169]
	v_add_f64 v[150:151], v[0:1], v[150:151]
	v_fma_f64 v[162:163], v[127:128], s[4:5], -v[125:126]
	v_add_f64 v[135:136], v[24:25], v[40:41]
	v_mul_f64 v[129:130], v[117:118], s[24:25]
	v_add_f64 v[123:124], v[123:124], v[76:77]
	v_add_f64 v[76:77], v[38:39], -v[22:23]
	v_fma_f64 v[168:169], v[131:132], s[10:11], -v[170:171]
	v_fma_f64 v[133:134], v[131:132], s[6:7], -v[133:134]
	v_add_f64 v[143:144], v[143:144], v[139:140]
	v_fma_f64 v[166:167], v[111:112], s[14:15], -v[166:167]
	v_add_f64 v[150:151], v[162:163], v[150:151]
	v_fma_f64 v[162:163], v[135:136], s[6:7], -v[129:130]
	v_add_f64 v[139:140], v[20:21], v[36:37]
	v_mul_f64 v[131:132], v[76:77], s[18:19]
	v_add_f64 v[168:169], v[168:169], v[123:124]
	v_add_f64 v[123:124], v[18:19], -v[14:15]
	s_mov_b32 s0, 0xaaaaaaab
	v_mul_hi_u32 v105, v108, s0
	v_fma_f64 v[170:171], v[111:112], s[2:3], -v[172:173]
	v_add_f64 v[137:138], v[133:134], v[137:138]
	v_fma_f64 v[172:173], v[111:112], s[10:11], -v[141:142]
	v_add_f64 v[166:167], v[166:167], v[143:144]
	v_add_f64 v[143:144], v[162:163], v[150:151]
	v_fma_f64 v[150:151], v[139:140], s[10:11], -v[131:132]
	v_add_f64 v[141:142], v[12:13], v[16:17]
	v_mul_f64 v[133:134], v[123:124], s[22:23]
	v_add_f64 v[111:112], v[10:11], -v[6:7]
	v_lshrrev_b32_e32 v105, 1, v105
	v_lshl_add_u32 v105, v105, 1, v105
	v_sub_u32_e32 v105, v108, v105
	s_movk_i32 s0, 0x68
	v_mul_u32_u24_e32 v105, 0x3cf, v105
	v_mad_u32_u24 v108, v104, s0, 0
	v_lshl_add_u32 v145, v105, 3, v108
	v_add_f64 v[162:163], v[170:171], v[168:169]
	v_fma_f64 v[168:169], v[109:110], s[6:7], -v[178:179]
	v_fma_f64 v[170:171], v[109:110], s[4:5], -v[180:181]
	v_add_f64 v[172:173], v[172:173], v[137:138]
	v_fma_f64 v[108:109], v[109:110], s[14:15], -v[146:147]
	v_add_f64 v[146:147], v[150:151], v[143:144]
	;; [unrolled: 2-line block ×3, first 2 shown]
	v_mul_f64 v[137:138], v[111:112], s[20:21]
	v_fma_f64 v[188:189], v[152:153], s[4:5], -v[188:189]
	v_fma_f64 v[148:149], v[152:153], s[10:11], -v[184:185]
	v_add_f64 v[166:167], v[168:169], v[166:167]
	v_add_f64 v[162:163], v[170:171], v[162:163]
	v_fma_f64 v[168:169], v[152:153], s[2:3], -v[198:199]
	v_fma_f64 v[170:171], v[152:153], s[14:15], -v[200:201]
	v_add_f64 v[108:109], v[108:109], v[172:173]
	v_fma_f64 v[152:153], v[152:153], s[16:17], -v[154:155]
	v_add_f64 v[146:147], v[150:151], v[146:147]
	v_fma_f64 v[150:151], v[143:144], s[16:17], -v[137:138]
	v_add_f64 v[154:155], v[186:187], v[176:177]
	v_add_f64 v[172:173], v[188:189], v[190:191]
	v_add_f64 v[148:149], v[148:149], v[156:157]
	;; [unrolled: 1-line block ×5, first 2 shown]
	v_cmp_gt_u32_e64 s[0:1], 36, v104
	v_add_f64 v[108:109], v[150:151], v[146:147]
	ds_write2_b64 v145, v[174:175], v[164:165] offset1:1
	ds_write2_b64 v145, v[206:207], v[208:209] offset0:2 offset1:3
	ds_write2_b64 v145, v[158:159], v[160:161] offset0:4 offset1:5
	;; [unrolled: 1-line block ×5, first 2 shown]
	ds_write_b64 v145, v[152:153] offset:96
	s_and_saveexec_b64 s[44:45], s[0:1]
	s_cbranch_execz .LBB0_14
; %bb.13:
	v_mul_f64 v[146:147], v[121:122], s[16:17]
	v_mul_f64 v[160:161], v[127:128], s[2:3]
	;; [unrolled: 1-line block ×8, first 2 shown]
	v_fma_f64 v[162:163], v[113:114], s[40:41], v[146:147]
	v_fma_f64 v[176:177], v[115:116], s[28:29], v[160:161]
	;; [unrolled: 1-line block ×8, first 2 shown]
	v_add_f64 v[162:163], v[0:1], v[162:163]
	v_fma_f64 v[170:171], v[117:118], s[22:23], v[170:171]
	v_mul_f64 v[166:167], v[141:142], s[10:11]
	v_add_f64 v[146:147], v[0:1], v[146:147]
	v_add_f64 v[196:197], v[0:1], v[196:197]
	;; [unrolled: 1-line block ×3, first 2 shown]
	v_mul_f64 v[172:173], v[141:142], s[2:3]
	v_mul_f64 v[186:187], v[127:128], s[14:15]
	v_add_f64 v[162:163], v[176:177], v[162:163]
	v_mul_f64 v[176:177], v[121:122], s[10:11]
	v_fma_f64 v[192:193], v[123:124], s[42:43], v[166:167]
	v_add_f64 v[146:147], v[160:161], v[146:147]
	v_fma_f64 v[166:167], v[123:124], s[18:19], v[166:167]
	v_mul_f64 v[184:185], v[135:136], s[2:3]
	v_mul_f64 v[164:165], v[143:144], s[6:7]
	;; [unrolled: 1-line block ×3, first 2 shown]
	v_add_f64 v[162:163], v[188:189], v[162:163]
	v_fma_f64 v[188:189], v[115:116], s[24:25], v[180:181]
	v_fma_f64 v[180:181], v[115:116], s[30:31], v[180:181]
	v_add_f64 v[146:147], v[170:171], v[146:147]
	v_fma_f64 v[170:171], v[76:77], s[20:21], v[174:175]
	v_fma_f64 v[174:175], v[76:77], s[40:41], v[174:175]
	;; [unrolled: 1-line block ×4, first 2 shown]
	v_add_f64 v[160:161], v[194:195], v[162:163]
	v_fma_f64 v[162:163], v[76:77], s[36:37], v[168:169]
	v_fma_f64 v[168:169], v[117:118], s[36:37], v[178:179]
	;; [unrolled: 1-line block ×3, first 2 shown]
	v_add_f64 v[180:181], v[180:181], v[182:183]
	v_add_f64 v[188:189], v[188:189], v[196:197]
	v_fma_f64 v[194:195], v[113:114], s[42:43], v[176:177]
	v_mul_f64 v[150:151], v[127:128], s[4:5]
	v_add_f64 v[160:161], v[192:193], v[160:161]
	v_add_f64 v[146:147], v[162:163], v[146:147]
	v_mul_f64 v[162:163], v[143:144], s[10:11]
	v_fma_f64 v[192:193], v[115:116], s[22:23], v[186:187]
	v_add_f64 v[178:179], v[178:179], v[180:181]
	v_add_f64 v[168:169], v[168:169], v[188:189]
	v_fma_f64 v[188:189], v[123:124], s[28:29], v[172:173]
	v_fma_f64 v[172:173], v[123:124], s[34:35], v[172:173]
	v_add_f64 v[182:183], v[0:1], v[194:195]
	v_add_f64 v[146:147], v[166:167], v[146:147]
	v_fma_f64 v[166:167], v[111:112], s[42:43], v[162:163]
	v_fma_f64 v[162:163], v[111:112], s[18:19], v[162:163]
	v_add_f64 v[174:175], v[174:175], v[178:179]
	v_add_f64 v[168:169], v[170:171], v[168:169]
	v_mul_f64 v[170:171], v[139:140], s[6:7]
	v_fma_f64 v[180:181], v[117:118], s[28:29], v[184:185]
	v_add_f64 v[182:183], v[192:193], v[182:183]
	v_mul_f64 v[178:179], v[141:142], s[16:17]
	v_add_f64 v[146:147], v[164:165], v[146:147]
	v_fma_f64 v[164:165], v[113:114], s[18:19], v[176:177]
	v_add_f64 v[172:173], v[172:173], v[174:175]
	v_add_f64 v[168:169], v[188:189], v[168:169]
	v_fma_f64 v[188:189], v[76:77], s[30:31], v[170:171]
	v_add_f64 v[119:120], v[119:120], v[148:149]
	v_add_f64 v[180:181], v[180:181], v[182:183]
	v_fma_f64 v[174:175], v[123:124], s[20:21], v[178:179]
	v_fma_f64 v[182:183], v[115:116], s[38:39], v[186:187]
	v_add_f64 v[164:165], v[0:1], v[164:165]
	v_add_f64 v[162:163], v[162:163], v[172:173]
	;; [unrolled: 1-line block ×3, first 2 shown]
	v_mul_f64 v[152:153], v[135:136], s[6:7]
	v_add_f64 v[119:120], v[0:1], v[119:120]
	v_add_f64 v[176:177], v[188:189], v[180:181]
	v_mul_f64 v[180:181], v[121:122], s[6:7]
	v_mul_f64 v[121:122], v[121:122], s[4:5]
	;; [unrolled: 1-line block ×4, first 2 shown]
	v_add_f64 v[172:173], v[48:49], v[172:173]
	v_add_f64 v[160:161], v[190:191], v[160:161]
	v_fma_f64 v[184:185], v[117:118], s[34:35], v[184:185]
	v_add_f64 v[174:175], v[174:175], v[176:177]
	v_fma_f64 v[176:177], v[113:114], s[30:31], v[180:181]
	v_fma_f64 v[180:181], v[113:114], s[24:25], v[180:181]
	v_add_f64 v[164:165], v[182:183], v[164:165]
	v_mul_f64 v[182:183], v[135:136], s[10:11]
	v_add_f64 v[172:173], v[40:41], v[172:173]
	v_fma_f64 v[190:191], v[115:116], s[40:41], v[188:189]
	v_fma_f64 v[188:189], v[115:116], s[20:21], v[188:189]
	v_mul_f64 v[135:136], v[135:136], s[16:17]
	v_add_f64 v[176:177], v[0:1], v[176:177]
	v_add_f64 v[180:181], v[0:1], v[180:181]
	v_mul_f64 v[154:155], v[139:140], s[10:11]
	v_fma_f64 v[170:171], v[76:77], s[24:25], v[170:171]
	v_add_f64 v[172:173], v[36:37], v[172:173]
	v_add_f64 v[164:165], v[184:185], v[164:165]
	v_mul_f64 v[184:185], v[139:140], s[2:3]
	v_fma_f64 v[192:193], v[117:118], s[18:19], v[182:183]
	v_fma_f64 v[182:183], v[117:118], s[42:43], v[182:183]
	v_add_f64 v[180:181], v[188:189], v[180:181]
	v_mul_f64 v[139:140], v[139:140], s[14:15]
	v_add_f64 v[176:177], v[190:191], v[176:177]
	v_add_f64 v[172:173], v[16:17], v[172:173]
	v_mul_f64 v[156:157], v[141:142], s[14:15]
	v_fma_f64 v[178:179], v[123:124], s[40:41], v[178:179]
	v_add_f64 v[164:165], v[170:171], v[164:165]
	v_mul_f64 v[170:171], v[141:142], s[4:5]
	v_fma_f64 v[190:191], v[76:77], s[28:29], v[184:185]
	v_fma_f64 v[184:185], v[76:77], s[34:35], v[184:185]
	v_add_f64 v[180:181], v[182:183], v[180:181]
	v_add_f64 v[148:149], v[8:9], v[172:173]
	v_fma_f64 v[172:173], v[113:114], s[26:27], v[121:122]
	v_fma_f64 v[113:114], v[113:114], s[36:37], v[121:122]
	v_add_f64 v[121:122], v[125:126], v[150:151]
	v_add_f64 v[176:177], v[192:193], v[176:177]
	v_mul_f64 v[158:159], v[143:144], s[16:17]
	v_mul_f64 v[188:189], v[143:144], s[14:15]
	v_add_f64 v[164:165], v[178:179], v[164:165]
	v_add_f64 v[125:126], v[4:5], v[148:149]
	v_fma_f64 v[148:149], v[115:116], s[18:19], v[127:128]
	v_add_f64 v[150:151], v[0:1], v[172:173]
	v_fma_f64 v[115:116], v[115:116], s[42:43], v[127:128]
	v_add_f64 v[0:1], v[0:1], v[113:114]
	v_add_f64 v[113:114], v[129:130], v[152:153]
	;; [unrolled: 1-line block ×3, first 2 shown]
	v_mul_f64 v[129:130], v[141:142], s[6:7]
	v_add_f64 v[121:122], v[12:13], v[125:126]
	v_fma_f64 v[125:126], v[117:118], s[20:21], v[135:136]
	v_add_f64 v[127:128], v[148:149], v[150:151]
	v_fma_f64 v[117:118], v[117:118], s[40:41], v[135:136]
	v_add_f64 v[0:1], v[115:116], v[0:1]
	v_add_f64 v[115:116], v[131:132], v[154:155]
	;; [unrolled: 1-line block ×3, first 2 shown]
	v_fma_f64 v[178:179], v[123:124], s[36:37], v[170:171]
	v_add_f64 v[119:120], v[20:21], v[121:122]
	v_fma_f64 v[121:122], v[76:77], s[38:39], v[139:140]
	v_add_f64 v[125:126], v[125:126], v[127:128]
	;; [unrolled: 2-line block ×3, first 2 shown]
	v_add_f64 v[117:118], v[133:134], v[156:157]
	v_add_f64 v[113:114], v[115:116], v[113:114]
	v_fma_f64 v[170:171], v[123:124], s[26:27], v[170:171]
	v_add_f64 v[115:116], v[24:25], v[119:120]
	v_add_f64 v[180:181], v[184:185], v[180:181]
	v_mul_f64 v[127:128], v[143:144], s[2:3]
	v_fma_f64 v[119:120], v[123:124], s[30:31], v[129:130]
	v_add_f64 v[121:122], v[121:122], v[125:126]
	v_add_f64 v[166:167], v[166:167], v[168:169]
	v_mul_f64 v[168:169], v[143:144], s[4:5]
	v_add_f64 v[176:177], v[190:191], v[176:177]
	v_fma_f64 v[123:124], v[123:124], s[24:25], v[129:130]
	v_add_f64 v[0:1], v[76:77], v[0:1]
	v_add_f64 v[76:77], v[137:138], v[158:159]
	;; [unrolled: 1-line block ×4, first 2 shown]
	v_fma_f64 v[182:183], v[111:112], s[22:23], v[188:189]
	v_add_f64 v[125:126], v[170:171], v[180:181]
	v_fma_f64 v[117:118], v[111:112], s[34:35], v[127:128]
	v_add_f64 v[119:120], v[119:120], v[121:122]
	v_fma_f64 v[186:187], v[111:112], s[26:27], v[168:169]
	v_fma_f64 v[168:169], v[111:112], s[36:37], v[168:169]
	;; [unrolled: 1-line block ×3, first 2 shown]
	v_add_f64 v[129:130], v[178:179], v[176:177]
	v_fma_f64 v[110:111], v[111:112], s[28:29], v[127:128]
	v_add_f64 v[0:1], v[123:124], v[0:1]
	v_add_f64 v[76:77], v[76:77], v[113:114]
	;; [unrolled: 1-line block ×9, first 2 shown]
	v_add_u32_e32 v110, 0xfd8, v145
	ds_write2_b64 v110, v[112:113], v[76:77] offset1:1
	v_add_u32_e32 v76, 0xfe8, v145
	ds_write2_b64 v76, v[116:117], v[114:115] offset1:1
	;; [unrolled: 2-line block ×6, first 2 shown]
	ds_write_b64 v145, v[108:109] offset:4152
.LBB0_14:
	s_or_b64 exec, exec, s[44:45]
	v_add_f64 v[0:1], v[102:103], v[78:79]
	v_add_f64 v[76:77], v[100:101], -v[84:85]
	v_add_f64 v[84:85], v[86:87], v[102:103]
	v_add_f64 v[80:81], v[96:97], -v[80:81]
	v_add_f64 v[88:89], v[92:93], -v[88:89]
	v_add_f64 v[100:101], v[82:83], v[98:99]
	v_add_f64 v[96:97], v[90:91], v[94:95]
	v_add_f64 v[68:69], v[68:69], -v[72:73]
	v_add_f64 v[0:1], v[98:99], v[0:1]
	v_mul_f64 v[92:93], v[76:77], s[28:29]
	v_mul_f64 v[98:99], v[76:77], s[26:27]
	;; [unrolled: 1-line block ×7, first 2 shown]
	v_add_f64 v[0:1], v[94:95], v[0:1]
	v_fma_f64 v[130:131], v[84:85], s[2:3], -v[92:93]
	v_fma_f64 v[92:93], v[84:85], s[2:3], v[92:93]
	v_mul_f64 v[116:117], v[80:81], s[18:19]
	v_mul_f64 v[94:95], v[80:81], s[20:21]
	;; [unrolled: 1-line block ×5, first 2 shown]
	v_add_f64 v[0:1], v[70:71], v[0:1]
	v_mul_f64 v[122:123], v[88:89], s[24:25]
	v_fma_f64 v[132:133], v[84:85], s[4:5], -v[98:99]
	v_fma_f64 v[98:99], v[84:85], s[4:5], v[98:99]
	v_fma_f64 v[134:135], v[84:85], s[6:7], -v[102:103]
	v_fma_f64 v[102:103], v[84:85], s[6:7], v[102:103]
	v_fma_f64 v[136:137], v[84:85], s[10:11], -v[110:111]
	v_fma_f64 v[110:111], v[84:85], s[10:11], v[110:111]
	v_add_f64 v[0:1], v[62:63], v[0:1]
	v_fma_f64 v[138:139], v[84:85], s[14:15], -v[112:113]
	v_fma_f64 v[112:113], v[84:85], s[14:15], v[112:113]
	v_fma_f64 v[140:141], v[84:85], s[16:17], -v[76:77]
	v_fma_f64 v[76:77], v[84:85], s[16:17], v[76:77]
	;; [unrolled: 2-line block ×3, first 2 shown]
	v_add_f64 v[130:131], v[78:79], v[130:131]
	v_add_f64 v[0:1], v[54:55], v[0:1]
	;; [unrolled: 1-line block ×3, first 2 shown]
	v_mul_f64 v[124:125], v[88:89], s[20:21]
	v_mul_f64 v[126:127], v[88:89], s[42:43]
	;; [unrolled: 1-line block ×3, first 2 shown]
	v_fma_f64 v[142:143], v[100:101], s[10:11], -v[116:117]
	v_fma_f64 v[116:117], v[100:101], s[10:11], v[116:117]
	v_fma_f64 v[146:147], v[100:101], s[16:17], -v[94:95]
	v_add_f64 v[0:1], v[58:59], v[0:1]
	v_fma_f64 v[94:95], v[100:101], s[16:17], v[94:95]
	v_fma_f64 v[148:149], v[100:101], s[14:15], -v[118:119]
	v_fma_f64 v[118:119], v[100:101], s[14:15], v[118:119]
	v_fma_f64 v[150:151], v[100:101], s[6:7], -v[120:121]
	v_fma_f64 v[120:121], v[100:101], s[6:7], v[120:121]
	v_fma_f64 v[152:153], v[100:101], s[2:3], -v[80:81]
	v_fma_f64 v[80:81], v[100:101], s[2:3], v[80:81]
	v_add_f64 v[0:1], v[66:67], v[0:1]
	v_fma_f64 v[100:101], v[96:97], s[6:7], -v[122:123]
	v_fma_f64 v[122:123], v[96:97], s[6:7], v[122:123]
	v_add_f64 v[132:133], v[78:79], v[132:133]
	v_add_f64 v[98:99], v[78:79], v[98:99]
	;; [unrolled: 1-line block ×14, first 2 shown]
	v_fma_f64 v[154:155], v[96:97], s[16:17], -v[124:125]
	v_add_f64 v[90:91], v[142:143], v[132:133]
	v_add_f64 v[94:95], v[94:95], v[102:103]
	;; [unrolled: 1-line block ×4, first 2 shown]
	v_fma_f64 v[72:73], v[96:97], s[2:3], v[128:129]
	v_add_f64 v[80:81], v[122:123], v[84:85]
	v_add_f64 v[0:1], v[82:83], v[0:1]
	;; [unrolled: 1-line block ×6, first 2 shown]
	v_fma_f64 v[90:91], v[96:97], s[2:3], -v[128:129]
	v_add_f64 v[70:71], v[74:75], v[70:71]
	v_mul_f64 v[74:75], v[68:69], s[18:19]
	v_add_f64 v[121:122], v[86:87], v[0:1]
	v_fma_f64 v[0:1], v[96:97], s[10:11], v[126:127]
	v_mul_f64 v[86:87], v[88:89], s[26:27]
	v_mul_f64 v[88:89], v[88:89], s[22:23]
	v_add_f64 v[72:73], v[72:73], v[82:83]
	v_mul_f64 v[82:83], v[68:69], s[38:39]
	v_fma_f64 v[124:125], v[96:97], s[16:17], v[124:125]
	v_fma_f64 v[156:157], v[96:97], s[10:11], -v[126:127]
	v_add_f64 v[92:93], v[116:117], v[98:99]
	v_add_f64 v[0:1], v[0:1], v[94:95]
	v_fma_f64 v[94:95], v[96:97], s[4:5], -v[86:87]
	v_fma_f64 v[86:87], v[96:97], s[4:5], v[86:87]
	v_add_f64 v[78:79], v[100:101], v[78:79]
	v_add_f64 v[90:91], v[90:91], v[102:103]
	v_fma_f64 v[100:101], v[96:97], s[14:15], -v[88:89]
	v_fma_f64 v[88:89], v[96:97], s[14:15], v[88:89]
	v_mul_f64 v[96:97], v[68:69], s[34:35]
	v_fma_f64 v[102:103], v[70:71], s[10:11], -v[74:75]
	v_add_f64 v[94:95], v[94:95], v[110:111]
	v_add_f64 v[86:87], v[86:87], v[112:113]
	v_fma_f64 v[74:75], v[70:71], s[10:11], v[74:75]
	v_fma_f64 v[110:111], v[70:71], s[14:15], -v[82:83]
	v_mul_f64 v[112:113], v[68:69], s[24:25]
	v_add_f64 v[92:93], v[124:125], v[92:93]
	v_add_f64 v[76:77], v[88:89], v[76:77]
	v_fma_f64 v[82:83], v[70:71], s[14:15], v[82:83]
	v_fma_f64 v[88:89], v[70:71], s[2:3], -v[96:97]
	v_add_f64 v[78:79], v[102:103], v[78:79]
	v_add_f64 v[74:75], v[74:75], v[80:81]
	;; [unrolled: 1-line block ×3, first 2 shown]
	v_fma_f64 v[84:85], v[70:71], s[2:3], v[96:97]
	v_fma_f64 v[96:97], v[70:71], s[6:7], -v[112:113]
	v_mul_f64 v[102:103], v[68:69], s[40:41]
	v_add_f64 v[60:61], v[60:61], -v[64:65]
	v_add_f64 v[98:99], v[146:147], v[134:135]
	v_add_f64 v[82:83], v[82:83], v[92:93]
	v_fma_f64 v[64:65], v[70:71], s[6:7], v[112:113]
	v_mul_f64 v[68:69], v[68:69], s[36:37]
	v_add_f64 v[0:1], v[84:85], v[0:1]
	v_add_f64 v[84:85], v[96:97], v[90:91]
	v_fma_f64 v[90:91], v[70:71], s[16:17], -v[102:103]
	v_fma_f64 v[92:93], v[70:71], s[16:17], v[102:103]
	v_add_f64 v[62:63], v[66:67], v[62:63]
	v_mul_f64 v[66:67], v[60:61], s[22:23]
	v_add_f64 v[114:115], v[152:153], v[140:141]
	v_add_f64 v[98:99], v[156:157], v[98:99]
	;; [unrolled: 1-line block ×3, first 2 shown]
	v_fma_f64 v[72:73], v[70:71], s[4:5], -v[68:69]
	v_fma_f64 v[68:69], v[70:71], s[4:5], v[68:69]
	v_mul_f64 v[70:71], v[60:61], s[30:31]
	v_add_f64 v[90:91], v[90:91], v[94:95]
	v_add_f64 v[86:87], v[92:93], v[86:87]
	v_mul_f64 v[92:93], v[60:61], s[26:27]
	v_fma_f64 v[94:95], v[62:63], s[14:15], -v[66:67]
	v_fma_f64 v[66:67], v[62:63], s[14:15], v[66:67]
	v_add_f64 v[100:101], v[100:101], v[114:115]
	v_add_f64 v[88:89], v[88:89], v[98:99]
	v_add_f64 v[68:69], v[68:69], v[76:77]
	v_fma_f64 v[76:77], v[62:63], s[6:7], -v[70:71]
	v_mul_f64 v[96:97], v[60:61], s[40:41]
	v_fma_f64 v[98:99], v[62:63], s[4:5], -v[92:93]
	v_add_f64 v[114:115], v[44:45], -v[32:33]
	v_add_f64 v[66:67], v[66:67], v[74:75]
	v_fma_f64 v[74:75], v[62:63], s[4:5], v[92:93]
	v_mul_f64 v[92:93], v[60:61], s[34:35]
	v_mul_f64 v[60:61], v[60:61], s[18:19]
	v_add_f64 v[76:77], v[76:77], v[80:81]
	v_fma_f64 v[80:81], v[62:63], s[16:17], -v[96:97]
	v_fma_f64 v[32:33], v[62:63], s[16:17], v[96:97]
	v_add_f64 v[110:111], v[34:35], v[46:47]
	v_mul_f64 v[112:113], v[114:115], s[28:29]
	v_add_f64 v[116:117], v[48:49], -v[28:29]
	v_fma_f64 v[44:45], v[62:63], s[2:3], -v[92:93]
	v_add_f64 v[72:73], v[72:73], v[100:101]
	v_add_f64 v[52:53], v[52:53], -v[56:57]
	v_add_f64 v[80:81], v[80:81], v[84:85]
	v_add_f64 v[64:65], v[32:33], v[64:65]
	v_fma_f64 v[28:29], v[62:63], s[10:11], -v[60:61]
	v_fma_f64 v[32:33], v[62:63], s[10:11], v[60:61]
	v_fma_f64 v[56:57], v[110:111], s[2:3], v[112:113]
	v_add_f64 v[84:85], v[44:45], v[90:91]
	v_add_f64 v[48:49], v[30:31], v[50:51]
	v_mul_f64 v[118:119], v[116:117], s[26:27]
	v_add_f64 v[44:45], v[40:41], -v[24:25]
	v_fma_f64 v[70:71], v[62:63], s[6:7], v[70:71]
	v_add_f64 v[0:1], v[74:75], v[0:1]
	v_fma_f64 v[74:75], v[62:63], s[2:3], v[92:93]
	v_add_f64 v[54:55], v[58:59], v[54:55]
	v_mul_f64 v[24:25], v[52:53], s[20:21]
	v_add_f64 v[58:59], v[28:29], v[72:73]
	v_add_f64 v[60:61], v[32:33], v[68:69]
	v_mul_f64 v[32:33], v[52:53], s[34:35]
	v_add_f64 v[56:57], v[2:3], v[56:57]
	v_fma_f64 v[62:63], v[48:49], s[4:5], v[118:119]
	v_add_f64 v[40:41], v[26:27], v[42:43]
	v_mul_f64 v[102:103], v[44:45], s[24:25]
	v_add_f64 v[28:29], v[36:37], -v[20:21]
	v_add_f64 v[70:71], v[70:71], v[82:83]
	v_add_f64 v[82:83], v[98:99], v[88:89]
	;; [unrolled: 1-line block ×3, first 2 shown]
	v_fma_f64 v[68:69], v[54:55], s[16:17], -v[24:25]
	v_fma_f64 v[72:73], v[54:55], s[16:17], v[24:25]
	v_fma_f64 v[86:87], v[54:55], s[2:3], -v[32:33]
	v_mul_f64 v[88:89], v[52:53], s[22:23]
	v_fma_f64 v[32:33], v[54:55], s[2:3], v[32:33]
	v_add_f64 v[56:57], v[62:63], v[56:57]
	v_fma_f64 v[62:63], v[40:41], s[6:7], v[102:103]
	v_add_f64 v[24:25], v[22:23], v[38:39]
	v_mul_f64 v[36:37], v[28:29], s[18:19]
	v_add_f64 v[20:21], v[16:17], -v[12:13]
	v_add_f64 v[12:13], v[14:15], v[18:19]
	v_fma_f64 v[16:17], v[54:55], s[14:15], -v[88:89]
	v_add_f64 v[129:130], v[32:33], v[70:71]
	v_add_f64 v[8:9], v[8:9], -v[4:5]
	v_add_f64 v[56:57], v[62:63], v[56:57]
	v_add_f64 v[78:79], v[94:95], v[78:79]
	v_fma_f64 v[62:63], v[24:25], s[10:11], v[36:37]
	v_mul_f64 v[32:33], v[20:21], s[22:23]
	v_add_f64 v[125:126], v[72:73], v[66:67]
	v_mul_f64 v[66:67], v[52:53], s[36:37]
	v_mul_f64 v[70:71], v[52:53], s[18:19]
	;; [unrolled: 1-line block ×3, first 2 shown]
	v_add_f64 v[131:132], v[16:17], v[82:83]
	v_add_f64 v[4:5], v[6:7], v[10:11]
	;; [unrolled: 1-line block ×3, first 2 shown]
	v_fma_f64 v[62:63], v[12:13], s[14:15], v[32:33]
	v_mul_f64 v[16:17], v[8:9], s[20:21]
	v_add_f64 v[123:124], v[68:69], v[78:79]
	v_add_f64 v[127:128], v[86:87], v[76:77]
	v_fma_f64 v[78:79], v[54:55], s[6:7], -v[52:53]
	v_fma_f64 v[52:53], v[54:55], s[6:7], v[52:53]
	v_fma_f64 v[68:69], v[54:55], s[14:15], v[88:89]
	v_fma_f64 v[72:73], v[54:55], s[4:5], -v[66:67]
	v_fma_f64 v[66:67], v[54:55], s[4:5], v[66:67]
	v_fma_f64 v[76:77], v[54:55], s[10:11], -v[70:71]
	v_fma_f64 v[70:71], v[54:55], s[10:11], v[70:71]
	v_add_f64 v[54:55], v[62:63], v[56:57]
	v_fma_f64 v[56:57], v[4:5], s[16:17], v[16:17]
	v_add_f64 v[146:147], v[52:53], v[60:61]
	v_lshlrev_b32_e32 v163, 3, v105
	v_lshlrev_b32_e32 v52, 3, v104
	v_add3_u32 v105, 0, v163, v52
	v_add_u32_e32 v52, 0, v52
	v_add_u32_e32 v158, v52, v163
	v_add_u32_e32 v165, 0x800, v158
	v_add_f64 v[100:101], v[56:57], v[54:55]
	v_add_u32_e32 v164, 0x1000, v158
	v_add_u32_e32 v166, 0x1400, v158
	;; [unrolled: 1-line block ×3, first 2 shown]
	v_add_f64 v[133:134], v[68:69], v[0:1]
	v_add_f64 v[135:136], v[72:73], v[80:81]
	;; [unrolled: 1-line block ×6, first 2 shown]
	s_waitcnt lgkmcnt(0)
	s_barrier
	ds_read_b64 v[0:1], v105
	ds_read2_b64 v[92:95], v158 offset0:195 offset1:234
	ds_read2_b64 v[68:71], v165 offset0:95 offset1:134
	;; [unrolled: 1-line block ×10, first 2 shown]
	v_add_u32_e32 v120, 0xc00, v158
	ds_read2_b64 v[72:75], v120 offset0:123 offset1:162
	ds_read2_b64 v[60:63], v167 offset0:129 offset1:168
	v_add_u32_e32 v159, 39, v104
	s_waitcnt lgkmcnt(0)
	s_barrier
	ds_write2_b64 v145, v[121:122], v[123:124] offset1:1
	ds_write2_b64 v145, v[127:128], v[131:132] offset0:2 offset1:3
	ds_write2_b64 v145, v[135:136], v[139:140] offset0:4 offset1:5
	;; [unrolled: 1-line block ×5, first 2 shown]
	ds_write_b64 v145, v[125:126] offset:96
	s_and_saveexec_b64 s[18:19], s[0:1]
	s_cbranch_execz .LBB0_16
; %bb.15:
	v_add_f64 v[46:47], v[46:47], v[2:3]
	v_mul_f64 v[127:128], v[24:25], s[10:11]
	v_mul_f64 v[129:130], v[12:13], s[14:15]
	s_mov_b32 s26, 0x66966769
	s_mov_b32 s10, 0x2ef20147
	;; [unrolled: 1-line block ×5, first 2 shown]
	v_add_f64 v[46:47], v[50:51], v[46:47]
	v_mul_f64 v[50:51], v[4:5], s[16:17]
	s_mov_b32 s16, 0x42a4c3d2
	s_mov_b32 s17, 0xbfea55e2
	;; [unrolled: 1-line block ×3, first 2 shown]
	v_mul_f64 v[121:122], v[110:111], s[2:3]
	v_mul_f64 v[123:124], v[48:49], s[4:5]
	;; [unrolled: 1-line block ×3, first 2 shown]
	v_add_f64 v[42:43], v[42:43], v[46:47]
	v_mul_f64 v[46:47], v[114:115], s[10:11]
	v_mul_f64 v[125:126], v[40:41], s[6:7]
	s_mov_b32 s0, 0x1ea71119
	s_mov_b32 s2, 0xebaa3ed8
	;; [unrolled: 1-line block ×5, first 2 shown]
	v_add_f64 v[38:39], v[38:39], v[42:43]
	v_mul_f64 v[42:43], v[114:115], s[26:27]
	s_mov_b32 s1, 0x3fe22d96
	s_mov_b32 s3, 0x3fbedb7d
	;; [unrolled: 1-line block ×6, first 2 shown]
	v_add_f64 v[18:19], v[18:19], v[38:39]
	v_mul_f64 v[38:39], v[114:115], s[16:17]
	s_mov_b32 s35, 0x3fe5384d
	s_mov_b32 s21, 0x3fefc445
	;; [unrolled: 1-line block ×5, first 2 shown]
	v_mul_f64 v[114:115], v[114:115], s[24:25]
	v_add_f64 v[10:11], v[10:11], v[18:19]
	v_mul_f64 v[18:19], v[116:117], s[10:11]
	v_mul_f64 v[133:134], v[116:117], s[24:25]
	;; [unrolled: 1-line block ×5, first 2 shown]
	s_mov_b32 s22, 0x93053d00
	s_mov_b32 s23, 0xbfef11f4
	v_add_f64 v[6:7], v[6:7], v[10:11]
	v_add_f64 v[10:11], v[121:122], -v[112:113]
	v_add_f64 v[112:113], v[123:124], -v[118:119]
	v_fma_f64 v[118:119], v[110:111], s[0:1], -v[38:39]
	v_fma_f64 v[38:39], v[110:111], s[0:1], v[38:39]
	v_fma_f64 v[121:122], v[110:111], s[2:3], -v[42:43]
	v_fma_f64 v[123:124], v[110:111], s[4:5], -v[46:47]
	v_fma_f64 v[42:43], v[110:111], s[2:3], v[42:43]
	v_add_f64 v[6:7], v[14:15], v[6:7]
	v_fma_f64 v[14:15], v[110:111], s[4:5], v[46:47]
	v_fma_f64 v[46:47], v[110:111], s[6:7], -v[131:132]
	v_fma_f64 v[139:140], v[110:111], s[22:23], -v[114:115]
	;; [unrolled: 1-line block ×3, first 2 shown]
	v_add_f64 v[10:11], v[2:3], v[10:11]
	s_mov_b32 s30, 0xe00740e9
	s_mov_b32 s31, 0x3fec55a7
	v_add_f64 v[6:7], v[22:23], v[6:7]
	v_fma_f64 v[22:23], v[48:49], s[22:23], -v[133:134]
	v_add_f64 v[46:47], v[2:3], v[46:47]
	v_fma_f64 v[131:132], v[110:111], s[6:7], v[131:132]
	v_fma_f64 v[110:111], v[110:111], s[22:23], v[114:115]
	v_fma_f64 v[114:115], v[48:49], s[4:5], -v[18:19]
	v_fma_f64 v[18:19], v[48:49], s[4:5], v[18:19]
	v_fma_f64 v[133:134], v[48:49], s[22:23], v[133:134]
	v_add_f64 v[6:7], v[26:27], v[6:7]
	v_add_f64 v[26:27], v[2:3], v[38:39]
	;; [unrolled: 1-line block ×6, first 2 shown]
	v_mul_f64 v[112:113], v[44:45], s[24:25]
	s_mov_b32 s37, 0x3fedeba7
	v_add_f64 v[6:7], v[30:31], v[6:7]
	v_add_f64 v[30:31], v[2:3], v[139:140]
	;; [unrolled: 1-line block ×4, first 2 shown]
	v_fma_f64 v[46:47], v[48:49], s[30:31], -v[135:136]
	s_mov_b32 s36, s10
	v_fma_f64 v[141:142], v[48:49], s[6:7], -v[137:138]
	v_fma_f64 v[137:138], v[48:49], s[6:7], v[137:138]
	v_add_f64 v[121:122], v[2:3], v[123:124]
	v_add_f64 v[14:15], v[2:3], v[14:15]
	;; [unrolled: 1-line block ×7, first 2 shown]
	v_fma_f64 v[42:43], v[48:49], s[2:3], v[116:117]
	v_fma_f64 v[48:49], v[48:49], s[30:31], v[135:136]
	v_add_f64 v[102:103], v[125:126], -v[102:103]
	v_mul_f64 v[114:115], v[44:45], s[36:37]
	v_add_f64 v[30:31], v[46:47], v[30:31]
	v_fma_f64 v[46:47], v[40:41], s[22:23], -v[112:113]
	v_mul_f64 v[116:117], v[44:45], s[28:29]
	v_add_f64 v[6:7], v[34:35], v[6:7]
	v_add_f64 v[34:35], v[141:142], v[121:122]
	;; [unrolled: 1-line block ×3, first 2 shown]
	v_fma_f64 v[48:49], v[40:41], s[22:23], v[112:113]
	v_add_f64 v[10:11], v[102:103], v[10:11]
	v_fma_f64 v[102:103], v[40:41], s[4:5], -v[114:115]
	v_mul_f64 v[112:113], v[44:45], s[16:17]
	v_add_f64 v[46:47], v[46:47], v[110:111]
	v_fma_f64 v[110:111], v[40:41], s[30:31], -v[116:117]
	v_mul_f64 v[44:45], v[44:45], s[14:15]
	v_fma_f64 v[114:115], v[40:41], s[4:5], v[114:115]
	v_fma_f64 v[116:117], v[40:41], s[30:31], v[116:117]
	v_add_f64 v[18:19], v[48:49], v[18:19]
	v_add_f64 v[22:23], v[102:103], v[22:23]
	v_fma_f64 v[48:49], v[40:41], s[0:1], -v[112:113]
	v_mul_f64 v[102:103], v[28:29], s[34:35]
	v_add_f64 v[34:35], v[110:111], v[34:35]
	v_fma_f64 v[110:111], v[40:41], s[0:1], v[112:113]
	v_fma_f64 v[112:113], v[40:41], s[6:7], -v[44:45]
	v_fma_f64 v[40:41], v[40:41], s[6:7], v[44:45]
	v_add_f64 v[14:15], v[137:138], v[14:15]
	v_add_f64 v[36:37], v[127:128], -v[36:37]
	v_add_f64 v[38:39], v[48:49], v[38:39]
	v_fma_f64 v[44:45], v[24:25], s[6:7], -v[102:103]
	v_fma_f64 v[48:49], v[24:25], s[6:7], v[102:103]
	v_mul_f64 v[102:103], v[28:29], s[28:29]
	s_mov_b32 s25, 0x3fcea1e5
	v_add_f64 v[2:3], v[40:41], v[2:3]
	v_mul_f64 v[40:41], v[28:29], s[26:27]
	s_mov_b32 s27, 0x3fea55e2
	s_mov_b32 s26, s16
	v_add_f64 v[42:43], v[42:43], v[123:124]
	v_add_f64 v[26:27], v[114:115], v[26:27]
	v_add_f64 v[14:15], v[116:117], v[14:15]
	v_add_f64 v[10:11], v[36:37], v[10:11]
	v_add_f64 v[36:37], v[44:45], v[46:47]
	v_add_f64 v[18:19], v[48:49], v[18:19]
	v_fma_f64 v[44:45], v[24:25], s[30:31], -v[102:103]
	v_mul_f64 v[46:47], v[28:29], s[24:25]
	v_fma_f64 v[48:49], v[24:25], s[30:31], v[102:103]
	v_fma_f64 v[102:103], v[24:25], s[2:3], -v[40:41]
	v_mul_f64 v[28:29], v[28:29], s[26:27]
	v_fma_f64 v[40:41], v[24:25], s[2:3], v[40:41]
	v_add_f64 v[42:43], v[110:111], v[42:43]
	v_add_f64 v[32:33], v[129:130], -v[32:33]
	v_add_f64 v[22:23], v[44:45], v[22:23]
	v_fma_f64 v[44:45], v[24:25], s[22:23], -v[46:47]
	v_add_f64 v[26:27], v[48:49], v[26:27]
	v_fma_f64 v[46:47], v[24:25], s[22:23], v[46:47]
	v_add_f64 v[34:35], v[102:103], v[34:35]
	v_mul_f64 v[48:49], v[20:21], s[20:21]
	v_fma_f64 v[102:103], v[24:25], s[0:1], -v[28:29]
	v_fma_f64 v[24:25], v[24:25], s[0:1], v[28:29]
	v_add_f64 v[14:15], v[40:41], v[14:15]
	v_mul_f64 v[40:41], v[20:21], s[16:17]
	v_add_f64 v[28:29], v[44:45], v[38:39]
	v_add_f64 v[38:39], v[46:47], v[42:43]
	v_mul_f64 v[44:45], v[20:21], s[24:25]
	v_fma_f64 v[42:43], v[12:13], s[2:3], -v[48:49]
	v_add_f64 v[10:11], v[32:33], v[10:11]
	v_add_f64 v[2:3], v[24:25], v[2:3]
	v_fma_f64 v[24:25], v[12:13], s[2:3], v[48:49]
	v_mul_f64 v[32:33], v[20:21], s[28:29]
	v_fma_f64 v[46:47], v[12:13], s[0:1], -v[40:41]
	v_fma_f64 v[40:41], v[12:13], s[0:1], v[40:41]
	v_mul_f64 v[20:21], v[20:21], s[10:11]
	v_add_f64 v[36:37], v[42:43], v[36:37]
	v_fma_f64 v[42:43], v[12:13], s[22:23], v[44:45]
	v_add_f64 v[30:31], v[112:113], v[30:31]
	v_add_f64 v[18:19], v[24:25], v[18:19]
	v_fma_f64 v[24:25], v[12:13], s[22:23], -v[44:45]
	v_fma_f64 v[44:45], v[12:13], s[30:31], -v[32:33]
	v_fma_f64 v[32:33], v[12:13], s[30:31], v[32:33]
	v_add_f64 v[26:27], v[40:41], v[26:27]
	v_mul_f64 v[40:41], v[8:9], s[28:29]
	v_add_f64 v[22:23], v[46:47], v[22:23]
	v_fma_f64 v[46:47], v[12:13], s[4:5], -v[20:21]
	v_fma_f64 v[12:13], v[12:13], s[4:5], v[20:21]
	v_add_f64 v[16:17], v[50:51], -v[16:17]
	v_add_f64 v[24:25], v[24:25], v[34:35]
	v_add_f64 v[20:21], v[32:33], v[38:39]
	v_mul_f64 v[38:39], v[8:9], s[14:15]
	v_fma_f64 v[32:33], v[4:5], s[30:31], -v[40:41]
	v_fma_f64 v[34:35], v[4:5], s[30:31], v[40:41]
	v_mul_f64 v[40:41], v[8:9], s[26:27]
	v_add_f64 v[2:3], v[12:13], v[2:3]
	v_mul_f64 v[12:13], v[8:9], s[10:11]
	v_add_f64 v[30:31], v[102:103], v[30:31]
	;; [unrolled: 2-line block ×3, first 2 shown]
	v_add_f64 v[16:17], v[32:33], v[36:37]
	v_fma_f64 v[32:33], v[4:5], s[6:7], -v[38:39]
	v_add_f64 v[28:29], v[44:45], v[28:29]
	v_add_f64 v[18:19], v[34:35], v[18:19]
	v_fma_f64 v[34:35], v[4:5], s[0:1], -v[40:41]
	v_fma_f64 v[36:37], v[4:5], s[0:1], v[40:41]
	v_fma_f64 v[40:41], v[4:5], s[4:5], -v[12:13]
	v_add_f64 v[14:15], v[42:43], v[14:15]
	v_add_f64 v[30:31], v[46:47], v[30:31]
	v_fma_f64 v[42:43], v[4:5], s[2:3], -v[8:9]
	v_fma_f64 v[8:9], v[4:5], s[2:3], v[8:9]
	v_fma_f64 v[12:13], v[4:5], s[4:5], v[12:13]
	v_fma_f64 v[4:5], v[4:5], s[6:7], v[38:39]
	v_add_f64 v[22:23], v[32:33], v[22:23]
	v_add_f64 v[24:25], v[34:35], v[24:25]
	;; [unrolled: 1-line block ×8, first 2 shown]
	v_mul_u32_u24_e32 v12, 0x68, v159
	v_add3_u32 v12, 0, v12, v163
	ds_write2_b64 v12, v[6:7], v[10:11] offset1:1
	ds_write2_b64 v12, v[16:17], v[22:23] offset0:2 offset1:3
	ds_write2_b64 v12, v[24:25], v[28:29] offset0:4 offset1:5
	;; [unrolled: 1-line block ×5, first 2 shown]
	ds_write_b64 v12, v[100:101] offset:96
.LBB0_16:
	s_or_b64 exec, exec, s[18:19]
	s_movk_i32 s0, 0x4f
	v_mul_lo_u16_sdwa v2, v104, s0 dst_sel:DWORD dst_unused:UNUSED_PAD src0_sel:BYTE_0 src1_sel:DWORD
	v_lshrrev_b16_e32 v2, 10, v2
	v_mul_lo_u16_e32 v3, 13, v2
	v_sub_u16_e32 v3, v104, v3
	v_mov_b32_e32 v20, 6
	v_lshlrev_b32_sdwa v4, v20, v3 dst_sel:DWORD dst_unused:UNUSED_PAD src0_sel:DWORD src1_sel:BYTE_0
	s_waitcnt lgkmcnt(0)
	s_barrier
	global_load_dwordx4 v[8:11], v4, s[8:9] offset:16
	global_load_dwordx4 v[12:15], v4, s[8:9]
	global_load_dwordx4 v[16:19], v4, s[8:9] offset:48
	global_load_dwordx4 v[24:27], v4, s[8:9] offset:32
	v_mul_lo_u16_sdwa v4, v159, s0 dst_sel:DWORD dst_unused:UNUSED_PAD src0_sel:BYTE_0 src1_sel:DWORD
	v_lshrrev_b16_e32 v4, 10, v4
	v_mul_lo_u16_e32 v5, 13, v4
	v_sub_u16_e32 v5, v159, v5
	v_lshlrev_b32_sdwa v6, v20, v5 dst_sel:DWORD dst_unused:UNUSED_PAD src0_sel:DWORD src1_sel:BYTE_0
	v_add_u32_e32 v160, 0x4e, v104
	global_load_dwordx4 v[28:31], v6, s[8:9]
	global_load_dwordx4 v[36:39], v6, s[8:9] offset:16
	global_load_dwordx4 v[40:43], v6, s[8:9] offset:32
	;; [unrolled: 1-line block ×3, first 2 shown]
	v_mul_lo_u16_sdwa v6, v160, s0 dst_sel:DWORD dst_unused:UNUSED_PAD src0_sel:BYTE_0 src1_sel:DWORD
	v_lshrrev_b16_e32 v6, 10, v6
	v_mul_lo_u16_e32 v7, 13, v6
	v_sub_u16_e32 v7, v160, v7
	v_lshlrev_b32_sdwa v21, v20, v7 dst_sel:DWORD dst_unused:UNUSED_PAD src0_sel:DWORD src1_sel:BYTE_0
	global_load_dwordx4 v[48:51], v21, s[8:9]
	global_load_dwordx4 v[110:113], v21, s[8:9] offset:16
	global_load_dwordx4 v[126:129], v21, s[8:9] offset:32
	;; [unrolled: 1-line block ×3, first 2 shown]
	v_add_u32_e32 v161, 0x75, v104
	v_mul_lo_u16_sdwa v21, v161, s0 dst_sel:DWORD dst_unused:UNUSED_PAD src0_sel:BYTE_0 src1_sel:DWORD
	v_lshrrev_b16_e32 v240, 10, v21
	v_mul_lo_u16_e32 v21, 13, v240
	v_sub_u16_e32 v241, v161, v21
	v_lshlrev_b32_sdwa v21, v20, v241 dst_sel:DWORD dst_unused:UNUSED_PAD src0_sel:DWORD src1_sel:BYTE_0
	global_load_dwordx4 v[172:175], v21, s[8:9]
	global_load_dwordx4 v[176:179], v21, s[8:9] offset:16
	global_load_dwordx4 v[180:183], v21, s[8:9] offset:32
	;; [unrolled: 1-line block ×3, first 2 shown]
	v_add_u32_e32 v162, 0x9c, v104
	v_mul_lo_u16_sdwa v21, v162, s0 dst_sel:DWORD dst_unused:UNUSED_PAD src0_sel:BYTE_0 src1_sel:DWORD
	v_lshrrev_b16_e32 v242, 10, v21
	v_mul_lo_u16_e32 v21, 13, v242
	v_sub_u16_e32 v243, v162, v21
	v_lshlrev_b32_sdwa v20, v20, v243 dst_sel:DWORD dst_unused:UNUSED_PAD src0_sel:DWORD src1_sel:BYTE_0
	global_load_dwordx4 v[188:191], v20, s[8:9]
	global_load_dwordx4 v[192:195], v20, s[8:9] offset:16
	ds_read_b64 v[132:133], v105
	ds_read2_b64 v[114:117], v158 offset0:195 offset1:234
	ds_read2_b64 v[196:199], v165 offset0:95 offset1:134
	;; [unrolled: 1-line block ×4, first 2 shown]
	global_load_dwordx4 v[204:207], v20, s[8:9] offset:48
	global_load_dwordx4 v[208:211], v20, s[8:9] offset:32
	ds_read2_b64 v[32:35], v158 offset0:39 offset1:78
	ds_read2_b64 v[212:215], v165 offset0:173 offset1:212
	;; [unrolled: 1-line block ×8, first 2 shown]
	s_mov_b32 s2, 0x134454ff
	s_mov_b32 s3, 0xbfee6f0e
	;; [unrolled: 1-line block ×10, first 2 shown]
	s_movk_i32 s0, 0x208
	v_mad_u32_u24 v2, v2, s0, 0
	s_waitcnt vmcnt(0) lgkmcnt(0)
	s_barrier
	v_mul_f64 v[118:119], v[198:199], v[10:11]
	v_mul_f64 v[10:11], v[70:71], v[10:11]
	;; [unrolled: 1-line block ×8, first 2 shown]
	v_fma_f64 v[150:151], v[70:71], v[8:9], v[118:119]
	v_mul_f64 v[236:237], v[123:124], v[42:43]
	v_mul_f64 v[42:43], v[98:99], v[42:43]
	v_fma_f64 v[142:143], v[198:199], v[8:9], -v[10:11]
	v_fma_f64 v[140:141], v[121:122], v[24:25], -v[26:27]
	v_mul_f64 v[8:9], v[220:221], v[50:51]
	v_mul_f64 v[10:11], v[80:81], v[50:51]
	;; [unrolled: 1-line block ×4, first 2 shown]
	v_fma_f64 v[154:155], v[92:93], v[12:13], v[102:103]
	v_fma_f64 v[120:121], v[123:124], v[40:41], -v[42:43]
	v_fma_f64 v[146:147], v[114:115], v[12:13], -v[14:15]
	v_fma_f64 v[152:153], v[96:97], v[24:25], v[130:131]
	v_fma_f64 v[124:125], v[80:81], v[48:49], v[8:9]
	v_mul_f64 v[8:9], v[218:219], v[170:171]
	v_fma_f64 v[156:157], v[66:67], v[16:17], v[134:135]
	v_fma_f64 v[136:137], v[202:203], v[16:17], -v[18:19]
	v_mul_f64 v[12:13], v[214:215], v[112:113]
	v_mul_f64 v[14:15], v[90:91], v[112:113]
	;; [unrolled: 1-line block ×5, first 2 shown]
	v_fma_f64 v[80:81], v[220:221], v[48:49], -v[10:11]
	v_mul_f64 v[10:11], v[222:223], v[174:175]
	v_fma_f64 v[130:131], v[86:87], v[168:169], v[8:9]
	v_mul_f64 v[8:9], v[82:83], v[174:175]
	v_mul_f64 v[138:139], v[116:117], v[30:31]
	;; [unrolled: 1-line block ×4, first 2 shown]
	v_fma_f64 v[134:135], v[88:89], v[36:37], v[148:149]
	v_fma_f64 v[148:149], v[84:85], v[44:45], v[238:239]
	;; [unrolled: 1-line block ×3, first 2 shown]
	v_fma_f64 v[84:85], v[214:215], v[110:111], -v[14:15]
	v_fma_f64 v[114:115], v[76:77], v[126:127], v[16:17]
	v_fma_f64 v[76:77], v[224:225], v[126:127], -v[18:19]
	v_fma_f64 v[86:87], v[218:219], v[168:169], -v[24:25]
	v_mul_f64 v[12:13], v[228:229], v[178:179]
	v_mul_f64 v[14:15], v[72:73], v[178:179]
	;; [unrolled: 1-line block ×4, first 2 shown]
	v_fma_f64 v[110:111], v[82:83], v[172:173], v[10:11]
	v_mul_f64 v[10:11], v[232:233], v[186:187]
	v_mul_f64 v[24:25], v[60:61], v[186:187]
	v_fma_f64 v[70:71], v[222:223], v[172:173], -v[8:9]
	v_mul_f64 v[8:9], v[196:197], v[190:191]
	v_fma_f64 v[144:145], v[94:95], v[28:29], v[138:139]
	v_fma_f64 v[116:117], v[116:117], v[28:29], -v[30:31]
	v_fma_f64 v[138:139], v[98:99], v[40:41], v[236:237]
	v_fma_f64 v[98:99], v[72:73], v[176:177], v[12:13]
	v_fma_f64 v[72:73], v[228:229], v[176:177], -v[14:15]
	v_fma_f64 v[102:103], v[78:79], v[180:181], v[16:17]
	v_fma_f64 v[66:67], v[226:227], v[180:181], -v[18:19]
	;; [unrolled: 2-line block ×3, first 2 shown]
	v_mul_f64 v[10:11], v[68:69], v[190:191]
	v_mul_f64 v[12:13], v[230:231], v[194:195]
	v_add_f64 v[14:15], v[0:1], v[154:155]
	v_mul_f64 v[16:17], v[74:75], v[194:195]
	v_add_f64 v[18:19], v[150:151], v[152:153]
	v_fma_f64 v[78:79], v[68:69], v[188:189], v[8:9]
	v_mul_f64 v[8:9], v[200:201], v[210:211]
	v_mul_f64 v[24:25], v[64:65], v[210:211]
	v_add_f64 v[30:31], v[154:155], v[156:157]
	v_mul_f64 v[38:39], v[88:89], v[38:39]
	v_fma_f64 v[68:69], v[196:197], v[188:189], -v[10:11]
	v_fma_f64 v[82:83], v[74:75], v[192:193], v[12:13]
	v_add_f64 v[10:11], v[14:15], v[150:151]
	v_fma_f64 v[74:75], v[230:231], v[192:193], -v[16:17]
	v_fma_f64 v[12:13], v[18:19], -0.5, v[0:1]
	v_add_f64 v[14:15], v[146:147], -v[136:137]
	v_fma_f64 v[90:91], v[64:65], v[208:209], v[8:9]
	v_fma_f64 v[64:65], v[200:201], v[208:209], -v[24:25]
	v_mul_f64 v[8:9], v[234:235], v[206:207]
	v_mul_f64 v[16:17], v[62:63], v[206:207]
	v_add_f64 v[24:25], v[142:143], -v[140:141]
	v_add_f64 v[26:27], v[154:155], -v[150:151]
	;; [unrolled: 1-line block ×3, first 2 shown]
	v_fma_f64 v[0:1], v[30:31], -0.5, v[0:1]
	v_fma_f64 v[118:119], v[212:213], v[36:37], -v[38:39]
	v_fma_f64 v[122:123], v[216:217], v[44:45], -v[46:47]
	v_add_f64 v[10:11], v[10:11], v[152:153]
	v_fma_f64 v[18:19], v[14:15], s[2:3], v[12:13]
	v_fma_f64 v[128:129], v[62:63], v[204:205], v[8:9]
	v_fma_f64 v[62:63], v[234:235], v[204:205], -v[16:17]
	v_add_f64 v[16:17], v[26:27], v[28:29]
	v_fma_f64 v[12:13], v[14:15], s[10:11], v[12:13]
	v_add_f64 v[26:27], v[134:135], v[138:139]
	v_fma_f64 v[28:29], v[24:25], s[10:11], v[0:1]
	v_add_f64 v[30:31], v[150:151], -v[154:155]
	v_add_f64 v[36:37], v[152:153], -v[156:157]
	v_fma_f64 v[0:1], v[24:25], s[2:3], v[0:1]
	v_add_f64 v[8:9], v[10:11], v[156:157]
	v_fma_f64 v[10:11], v[24:25], s[6:7], v[18:19]
	v_fma_f64 v[12:13], v[24:25], s[14:15], v[12:13]
	v_fma_f64 v[24:25], v[26:27], -0.5, v[56:57]
	v_add_f64 v[26:27], v[116:117], -v[122:123]
	v_fma_f64 v[28:29], v[14:15], s[6:7], v[28:29]
	v_add_f64 v[30:31], v[30:31], v[36:37]
	v_fma_f64 v[0:1], v[14:15], s[14:15], v[0:1]
	v_add_f64 v[14:15], v[144:145], v[148:149]
	v_fma_f64 v[10:11], v[16:17], s[4:5], v[10:11]
	v_fma_f64 v[12:13], v[16:17], s[4:5], v[12:13]
	v_add_f64 v[36:37], v[118:119], -v[120:121]
	v_fma_f64 v[16:17], v[26:27], s[2:3], v[24:25]
	v_add_f64 v[38:39], v[148:149], -v[138:139]
	v_fma_f64 v[28:29], v[30:31], s[4:5], v[28:29]
	v_fma_f64 v[0:1], v[30:31], s[4:5], v[0:1]
	v_fma_f64 v[14:15], v[14:15], -0.5, v[56:57]
	v_add_f64 v[30:31], v[144:145], -v[134:135]
	v_fma_f64 v[24:25], v[26:27], s[10:11], v[24:25]
	v_add_f64 v[40:41], v[58:59], v[124:125]
	v_fma_f64 v[16:17], v[36:37], s[6:7], v[16:17]
	v_add_f64 v[42:43], v[112:113], v[114:115]
	v_add_f64 v[46:47], v[134:135], -v[144:145]
	v_add_f64 v[48:49], v[138:139], -v[148:149]
	v_fma_f64 v[44:45], v[36:37], s[10:11], v[14:15]
	v_add_f64 v[30:31], v[30:31], v[38:39]
	v_fma_f64 v[24:25], v[36:37], s[14:15], v[24:25]
	v_fma_f64 v[14:15], v[36:37], s[2:3], v[14:15]
	v_add_f64 v[36:37], v[40:41], v[112:113]
	v_fma_f64 v[38:39], v[42:43], -0.5, v[58:59]
	v_add_f64 v[40:41], v[80:81], -v[86:87]
	v_add_f64 v[18:19], v[56:57], v[144:145]
	v_fma_f64 v[42:43], v[26:27], s[6:7], v[44:45]
	v_add_f64 v[44:45], v[46:47], v[48:49]
	v_fma_f64 v[16:17], v[30:31], s[4:5], v[16:17]
	v_fma_f64 v[24:25], v[30:31], s[4:5], v[24:25]
	;; [unrolled: 1-line block ×3, first 2 shown]
	v_add_f64 v[30:31], v[124:125], v[130:131]
	v_add_f64 v[48:49], v[98:99], v[102:103]
	;; [unrolled: 1-line block ×3, first 2 shown]
	v_fma_f64 v[36:37], v[40:41], s[2:3], v[38:39]
	v_add_f64 v[46:47], v[84:85], -v[76:77]
	v_fma_f64 v[42:43], v[44:45], s[4:5], v[42:43]
	v_add_f64 v[50:51], v[124:125], -v[112:113]
	v_add_f64 v[56:57], v[130:131], -v[114:115]
	v_fma_f64 v[14:15], v[44:45], s[4:5], v[14:15]
	v_fma_f64 v[30:31], v[30:31], -0.5, v[58:59]
	v_add_f64 v[44:45], v[52:53], v[110:111]
	v_fma_f64 v[48:49], v[48:49], -0.5, v[52:53]
	v_add_f64 v[58:59], v[70:71], -v[60:61]
	v_fma_f64 v[38:39], v[40:41], s[10:11], v[38:39]
	v_fma_f64 v[36:37], v[46:47], s[6:7], v[36:37]
	v_add_f64 v[50:51], v[50:51], v[56:57]
	v_add_f64 v[88:89], v[112:113], -v[124:125]
	v_fma_f64 v[56:57], v[46:47], s[10:11], v[30:31]
	v_add_f64 v[92:93], v[114:115], -v[130:131]
	v_fma_f64 v[30:31], v[46:47], s[2:3], v[30:31]
	v_add_f64 v[44:45], v[44:45], v[98:99]
	v_fma_f64 v[94:95], v[58:59], s[2:3], v[48:49]
	v_add_f64 v[96:97], v[72:73], -v[66:67]
	v_fma_f64 v[38:39], v[46:47], s[14:15], v[38:39]
	v_add_f64 v[46:47], v[110:111], v[126:127]
	v_add_f64 v[168:169], v[110:111], -v[98:99]
	v_add_f64 v[170:171], v[126:127], -v[102:103]
	v_fma_f64 v[56:57], v[40:41], s[6:7], v[56:57]
	v_add_f64 v[88:89], v[88:89], v[92:93]
	v_fma_f64 v[30:31], v[40:41], s[14:15], v[30:31]
	v_add_f64 v[40:41], v[44:45], v[102:103]
	v_fma_f64 v[44:45], v[96:97], s[6:7], v[94:95]
	v_fma_f64 v[46:47], v[46:47], -0.5, v[52:53]
	v_add_f64 v[52:53], v[82:83], v[90:91]
	v_add_f64 v[94:95], v[78:79], v[128:129]
	;; [unrolled: 1-line block ×3, first 2 shown]
	v_fma_f64 v[36:37], v[50:51], s[4:5], v[36:37]
	v_fma_f64 v[38:39], v[50:51], s[4:5], v[38:39]
	;; [unrolled: 1-line block ×5, first 2 shown]
	v_add_f64 v[88:89], v[98:99], -v[110:111]
	v_add_f64 v[168:169], v[102:103], -v[126:127]
	v_add_f64 v[170:171], v[54:55], v[78:79]
	v_fma_f64 v[52:53], v[52:53], -0.5, v[54:55]
	v_add_f64 v[172:173], v[68:69], -v[62:63]
	v_add_f64 v[174:175], v[74:75], -v[64:65]
	v_fma_f64 v[54:55], v[94:95], -0.5, v[54:55]
	v_add_f64 v[18:19], v[18:19], v[134:135]
	v_fma_f64 v[56:57], v[96:97], s[10:11], v[46:47]
	v_fma_f64 v[48:49], v[96:97], s[14:15], v[48:49]
	v_add_f64 v[88:89], v[88:89], v[168:169]
	v_fma_f64 v[46:47], v[96:97], s[2:3], v[46:47]
	v_add_f64 v[94:95], v[170:171], v[82:83]
	v_fma_f64 v[96:97], v[172:173], s[2:3], v[52:53]
	v_add_f64 v[168:169], v[78:79], -v[82:83]
	v_add_f64 v[170:171], v[128:129], -v[90:91]
	v_fma_f64 v[176:177], v[174:175], s[10:11], v[54:55]
	v_add_f64 v[178:179], v[82:83], -v[78:79]
	v_add_f64 v[180:181], v[90:91], -v[128:129]
	v_fma_f64 v[52:53], v[172:173], s[10:11], v[52:53]
	v_fma_f64 v[54:55], v[174:175], s[2:3], v[54:55]
	v_add_f64 v[18:19], v[18:19], v[138:139]
	v_fma_f64 v[56:57], v[58:59], s[6:7], v[56:57]
	v_fma_f64 v[46:47], v[58:59], s[14:15], v[46:47]
	v_add_f64 v[58:59], v[94:95], v[90:91]
	v_fma_f64 v[94:95], v[174:175], s[6:7], v[96:97]
	v_add_f64 v[96:97], v[168:169], v[170:171]
	;; [unrolled: 2-line block ×3, first 2 shown]
	v_fma_f64 v[52:53], v[174:175], s[14:15], v[52:53]
	v_fma_f64 v[54:55], v[172:173], s[14:15], v[54:55]
	v_add_f64 v[18:19], v[18:19], v[148:149]
	v_add_f64 v[26:27], v[26:27], v[130:131]
	;; [unrolled: 1-line block ×3, first 2 shown]
	v_fma_f64 v[44:45], v[92:93], s[4:5], v[44:45]
	v_fma_f64 v[48:49], v[92:93], s[4:5], v[48:49]
	;; [unrolled: 1-line block ×4, first 2 shown]
	v_add_f64 v[58:59], v[58:59], v[128:129]
	v_fma_f64 v[92:93], v[96:97], s[4:5], v[94:95]
	v_fma_f64 v[94:95], v[170:171], s[4:5], v[168:169]
	v_mov_b32_e32 v168, 3
	v_fma_f64 v[88:89], v[96:97], s[4:5], v[52:53]
	v_fma_f64 v[96:97], v[170:171], s[4:5], v[54:55]
	v_lshlrev_b32_sdwa v3, v168, v3 dst_sel:DWORD dst_unused:UNUSED_PAD src0_sel:DWORD src1_sel:BYTE_0
	v_add3_u32 v52, v2, v3, v163
	ds_write2_b64 v52, v[8:9], v[10:11] offset1:13
	ds_write2_b64 v52, v[28:29], v[0:1] offset0:26 offset1:39
	ds_write_b64 v52, v[12:13] offset:416
	v_mad_u32_u24 v0, v4, s0, 0
	v_lshlrev_b32_sdwa v1, v168, v5 dst_sel:DWORD dst_unused:UNUSED_PAD src0_sel:DWORD src1_sel:BYTE_0
	v_add3_u32 v53, v0, v1, v163
	v_mad_u32_u24 v0, v6, s0, 0
	v_lshlrev_b32_sdwa v1, v168, v7 dst_sel:DWORD dst_unused:UNUSED_PAD src0_sel:DWORD src1_sel:BYTE_0
	v_add3_u32 v54, v0, v1, v163
	;; [unrolled: 3-line block ×3, first 2 shown]
	v_mad_u32_u24 v0, v242, s0, 0
	v_lshlrev_b32_sdwa v1, v168, v243 dst_sel:DWORD dst_unused:UNUSED_PAD src0_sel:DWORD src1_sel:BYTE_0
	ds_write2_b64 v53, v[18:19], v[16:17] offset1:13
	ds_write2_b64 v53, v[42:43], v[14:15] offset0:26 offset1:39
	ds_write_b64 v53, v[24:25] offset:416
	ds_write2_b64 v54, v[26:27], v[36:37] offset1:13
	ds_write2_b64 v54, v[50:51], v[30:31] offset0:26 offset1:39
	ds_write_b64 v54, v[38:39] offset:416
	;; [unrolled: 3-line block ×3, first 2 shown]
	v_add3_u32 v56, v0, v1, v163
	ds_write2_b64 v56, v[58:59], v[92:93] offset1:13
	ds_write2_b64 v56, v[94:95], v[96:97] offset0:26 offset1:39
	ds_write_b64 v56, v[88:89] offset:416
	s_waitcnt lgkmcnt(0)
	s_barrier
	ds_read2_b64 v[0:3], v165 offset0:17 offset1:69
	ds_read2_b64 v[16:19], v164 offset0:86 offset1:138
	;; [unrolled: 1-line block ×11, first 2 shown]
	ds_read_b64 v[92:93], v105
	ds_read_b64 v[96:97], v158 offset:7384
	v_cmp_gt_u32_e64 s[0:1], 13, v104
                                        ; implicit-def: $vgpr94_vgpr95
	s_and_saveexec_b64 s[16:17], s[0:1]
	s_cbranch_execz .LBB0_18
; %bb.17:
	ds_read_b64 v[88:89], v158 offset:2496
	ds_read_b64 v[108:109], v158 offset:5096
	;; [unrolled: 1-line block ×3, first 2 shown]
.LBB0_18:
	s_or_b64 exec, exec, s[16:17]
	v_add_f64 v[57:58], v[142:143], v[140:141]
	v_add_f64 v[154:155], v[154:155], -v[156:157]
	v_add_f64 v[156:157], v[146:147], v[136:137]
	v_add_f64 v[164:165], v[132:133], v[146:147]
	v_add_f64 v[150:151], v[150:151], -v[152:153]
	v_add_f64 v[152:153], v[146:147], -v[142:143]
	;; [unrolled: 1-line block ×3, first 2 shown]
	v_add_f64 v[170:171], v[32:33], v[116:117]
	v_fma_f64 v[57:58], v[57:58], -0.5, v[132:133]
	v_add_f64 v[146:147], v[142:143], -v[146:147]
	v_fma_f64 v[132:133], v[156:157], -0.5, v[132:133]
	v_add_f64 v[168:169], v[140:141], -v[136:137]
	v_add_f64 v[156:157], v[118:119], v[120:121]
	v_add_f64 v[144:145], v[144:145], -v[148:149]
	v_add_f64 v[142:143], v[164:165], v[142:143]
	v_add_f64 v[152:153], v[152:153], v[166:167]
	v_fma_f64 v[148:149], v[154:155], s[10:11], v[57:58]
	v_fma_f64 v[57:58], v[154:155], s[2:3], v[57:58]
	;; [unrolled: 1-line block ×4, first 2 shown]
	v_add_f64 v[170:171], v[170:171], v[118:119]
	v_add_f64 v[164:165], v[116:117], v[122:123]
	;; [unrolled: 1-line block ×4, first 2 shown]
	v_fma_f64 v[142:143], v[150:151], s[14:15], v[148:149]
	v_fma_f64 v[57:58], v[150:151], s[6:7], v[57:58]
	v_fma_f64 v[148:149], v[156:157], -0.5, v[32:33]
	v_fma_f64 v[150:151], v[154:155], s[14:15], v[166:167]
	v_fma_f64 v[132:133], v[154:155], s[6:7], v[132:133]
	v_add_f64 v[154:155], v[170:171], v[120:121]
	v_add_f64 v[136:137], v[140:141], v[136:137]
	v_add_f64 v[134:135], v[134:135], -v[138:139]
	v_fma_f64 v[140:141], v[152:153], s[4:5], v[142:143]
	v_fma_f64 v[57:58], v[152:153], s[4:5], v[57:58]
	;; [unrolled: 1-line block ×5, first 2 shown]
	v_fma_f64 v[32:33], v[164:165], -0.5, v[32:33]
	v_add_f64 v[146:147], v[154:155], v[122:123]
	v_add_f64 v[150:151], v[116:117], -v[118:119]
	v_add_f64 v[152:153], v[122:123], -v[120:121]
	v_fma_f64 v[148:149], v[144:145], s[2:3], v[148:149]
	v_add_f64 v[154:155], v[34:35], v[80:81]
	v_fma_f64 v[142:143], v[134:135], s[14:15], v[142:143]
	v_add_f64 v[116:117], v[118:119], -v[116:117]
	v_fma_f64 v[164:165], v[134:135], s[2:3], v[32:33]
	v_add_f64 v[118:119], v[120:121], -v[122:123]
	v_fma_f64 v[32:33], v[134:135], s[10:11], v[32:33]
	v_add_f64 v[120:121], v[150:151], v[152:153]
	v_fma_f64 v[122:123], v[134:135], s[6:7], v[148:149]
	v_add_f64 v[134:135], v[154:155], v[84:85]
	v_add_f64 v[156:157], v[84:85], v[76:77]
	v_add_f64 v[124:125], v[124:125], -v[130:131]
	v_fma_f64 v[130:131], v[144:145], s[14:15], v[164:165]
	v_add_f64 v[116:117], v[116:117], v[118:119]
	v_fma_f64 v[32:33], v[144:145], s[6:7], v[32:33]
	v_fma_f64 v[118:119], v[120:121], s[4:5], v[142:143]
	;; [unrolled: 1-line block ×3, first 2 shown]
	v_add_f64 v[122:123], v[134:135], v[76:77]
	v_add_f64 v[134:135], v[80:81], v[86:87]
	v_fma_f64 v[148:149], v[156:157], -0.5, v[34:35]
	v_add_f64 v[112:113], v[112:113], -v[114:115]
	v_fma_f64 v[114:115], v[116:117], s[4:5], v[130:131]
	v_add_f64 v[130:131], v[72:73], v[66:67]
	v_add_f64 v[144:145], v[80:81], -v[84:85]
	v_add_f64 v[150:151], v[86:87], -v[76:77]
	;; [unrolled: 1-line block ×3, first 2 shown]
	v_fma_f64 v[34:35], v[134:135], -0.5, v[34:35]
	v_add_f64 v[134:135], v[20:21], v[70:71]
	v_fma_f64 v[142:143], v[124:125], s[10:11], v[148:149]
	v_add_f64 v[80:81], v[84:85], -v[80:81]
	v_fma_f64 v[130:131], v[130:131], -0.5, v[20:21]
	v_add_f64 v[76:77], v[76:77], -v[86:87]
	v_add_f64 v[126:127], v[144:145], v[150:151]
	v_fma_f64 v[32:33], v[116:117], s[4:5], v[32:33]
	v_fma_f64 v[144:145], v[112:113], s[2:3], v[34:35]
	;; [unrolled: 1-line block ×3, first 2 shown]
	v_add_f64 v[84:85], v[134:135], v[72:73]
	v_add_f64 v[116:117], v[122:123], v[86:87]
	v_fma_f64 v[122:123], v[112:113], s[14:15], v[142:143]
	v_fma_f64 v[142:143], v[124:125], s[2:3], v[148:149]
	;; [unrolled: 1-line block ×3, first 2 shown]
	v_add_f64 v[98:99], v[98:99], -v[102:103]
	v_add_f64 v[102:103], v[70:71], -v[72:73]
	;; [unrolled: 1-line block ×3, first 2 shown]
	v_fma_f64 v[144:145], v[124:125], s[14:15], v[144:145]
	v_add_f64 v[76:77], v[80:81], v[76:77]
	v_fma_f64 v[34:35], v[124:125], s[6:7], v[34:35]
	v_add_f64 v[80:81], v[84:85], v[66:67]
	;; [unrolled: 2-line block ×4, first 2 shown]
	v_fma_f64 v[102:103], v[126:127], s[4:5], v[122:123]
	v_fma_f64 v[122:123], v[76:77], s[4:5], v[144:145]
	;; [unrolled: 1-line block ×3, first 2 shown]
	v_add_f64 v[76:77], v[80:81], v[60:61]
	v_add_f64 v[80:81], v[74:75], v[64:65]
	v_add_f64 v[70:71], v[72:73], -v[70:71]
	v_add_f64 v[72:73], v[68:69], v[62:63]
	v_fma_f64 v[20:21], v[142:143], -0.5, v[20:21]
	v_fma_f64 v[124:125], v[110:111], s[2:3], v[130:131]
	v_add_f64 v[59:60], v[66:67], -v[60:61]
	v_add_f64 v[66:67], v[22:23], v[68:69]
	v_add_f64 v[78:79], v[78:79], -v[128:129]
	v_fma_f64 v[80:81], v[80:81], -0.5, v[22:23]
	v_add_f64 v[82:83], v[82:83], -v[90:91]
	v_fma_f64 v[22:23], v[72:73], -0.5, v[22:23]
	v_fma_f64 v[112:113], v[126:127], s[4:5], v[112:113]
	v_fma_f64 v[126:127], v[98:99], s[2:3], v[20:21]
	;; [unrolled: 1-line block ×3, first 2 shown]
	v_add_f64 v[59:60], v[70:71], v[59:60]
	v_fma_f64 v[20:21], v[98:99], s[10:11], v[20:21]
	v_add_f64 v[66:67], v[66:67], v[74:75]
	v_fma_f64 v[70:71], v[78:79], s[10:11], v[80:81]
	v_add_f64 v[72:73], v[68:69], -v[74:75]
	v_add_f64 v[90:91], v[62:63], -v[64:65]
	v_fma_f64 v[80:81], v[78:79], s[2:3], v[80:81]
	v_fma_f64 v[98:99], v[82:83], s[2:3], v[22:23]
	v_add_f64 v[68:69], v[74:75], -v[68:69]
	v_add_f64 v[74:75], v[64:65], -v[62:63]
	v_fma_f64 v[22:23], v[82:83], s[10:11], v[22:23]
	v_fma_f64 v[126:127], v[110:111], s[14:15], v[126:127]
	;; [unrolled: 1-line block ×3, first 2 shown]
	v_add_f64 v[64:65], v[66:67], v[64:65]
	v_fma_f64 v[66:67], v[82:83], s[14:15], v[70:71]
	v_add_f64 v[70:71], v[72:73], v[90:91]
	v_fma_f64 v[72:73], v[82:83], s[6:7], v[80:81]
	v_fma_f64 v[80:81], v[78:79], s[14:15], v[98:99]
	v_add_f64 v[68:69], v[68:69], v[74:75]
	v_fma_f64 v[22:23], v[78:79], s[6:7], v[22:23]
	v_fma_f64 v[78:79], v[59:60], s[4:5], v[126:127]
	;; [unrolled: 1-line block ×3, first 2 shown]
	v_add_f64 v[59:60], v[64:65], v[62:63]
	v_fma_f64 v[84:85], v[86:87], s[4:5], v[84:85]
	v_fma_f64 v[74:75], v[86:87], s[4:5], v[124:125]
	;; [unrolled: 1-line block ×6, first 2 shown]
	s_waitcnt lgkmcnt(0)
	s_barrier
	ds_write2_b64 v52, v[136:137], v[140:141] offset1:13
	ds_write2_b64 v52, v[138:139], v[132:133] offset0:26 offset1:39
	ds_write_b64 v52, v[57:58] offset:416
	ds_write2_b64 v53, v[146:147], v[118:119] offset1:13
	ds_write2_b64 v53, v[114:115], v[32:33] offset0:26 offset1:39
	ds_write_b64 v53, v[120:121] offset:416
	;; [unrolled: 3-line block ×5, first 2 shown]
	v_add_u32_e32 v32, 0x800, v158
	v_add_u32_e32 v64, 0x1000, v158
	s_waitcnt lgkmcnt(0)
	s_barrier
	ds_read2_b64 v[20:23], v32 offset0:17 offset1:69
	ds_read2_b64 v[60:63], v64 offset0:86 offset1:138
	;; [unrolled: 1-line block ×7, first 2 shown]
	v_add_u32_e32 v32, 0x1400, v158
	ds_read2_b64 v[72:75], v32 offset0:127 offset1:166
	ds_read2_b64 v[32:35], v158 offset0:195 offset1:234
	;; [unrolled: 1-line block ×3, first 2 shown]
	v_add_u32_e32 v64, 0x1800, v158
	ds_read2_b64 v[64:67], v64 offset0:77 offset1:116
	ds_read_b64 v[98:99], v105
	ds_read_b64 v[110:111], v158 offset:7384
                                        ; implicit-def: $vgpr102_vgpr103
	s_and_saveexec_b64 s[2:3], s[0:1]
	s_cbranch_execz .LBB0_20
; %bb.19:
	ds_read_b64 v[90:91], v158 offset:2496
	ds_read_b64 v[100:101], v158 offset:5096
	;; [unrolled: 1-line block ×3, first 2 shown]
.LBB0_20:
	s_or_b64 exec, exec, s[2:3]
	v_lshlrev_b32_e32 v116, 1, v104
	v_mov_b32_e32 v117, 0
	v_lshlrev_b64 v[112:113], 4, v[116:117]
	v_mov_b32_e32 v124, s9
	v_add_co_u32_e64 v118, s[2:3], s8, v112
	v_addc_co_u32_e64 v119, s[2:3], v124, v113, s[2:3]
	v_subrev_u32_e32 v122, 26, v104
	v_cmp_gt_u32_e64 s[2:3], 26, v104
	v_add_u32_e32 v116, 26, v116
	v_cndmask_b32_e64 v202, v122, v159, s[2:3]
	v_mov_b32_e32 v123, v117
	v_lshlrev_b64 v[116:117], 4, v[116:117]
	v_lshlrev_b32_e32 v122, 1, v202
	v_lshlrev_b64 v[122:123], 4, v[122:123]
	v_add_co_u32_e64 v116, s[2:3], s8, v116
	v_addc_co_u32_e64 v117, s[2:3], v124, v117, s[2:3]
	v_add_co_u32_e64 v122, s[2:3], s8, v122
	global_load_dwordx4 v[112:115], v[118:119], off offset:848
	s_nop 0
	global_load_dwordx4 v[118:121], v[118:119], off offset:832
	v_addc_co_u32_e64 v123, s[2:3], v124, v123, s[2:3]
	global_load_dwordx4 v[126:129], v[116:117], off offset:832
	global_load_dwordx4 v[130:133], v[122:123], off offset:832
	;; [unrolled: 1-line block ×4, first 2 shown]
	s_movk_i32 s2, 0xfd
	v_mul_lo_u16_sdwa v116, v161, s2 dst_sel:DWORD dst_unused:UNUSED_PAD src0_sel:BYTE_0 src1_sel:DWORD
	v_lshrrev_b16_e32 v203, 14, v116
	v_mul_lo_u16_e32 v116, 0x41, v203
	v_sub_u16_e32 v204, v161, v116
	v_mov_b32_e32 v116, 5
	v_lshlrev_b32_sdwa v117, v116, v204 dst_sel:DWORD dst_unused:UNUSED_PAD src0_sel:DWORD src1_sel:BYTE_0
	global_load_dwordx4 v[142:145], v117, s[8:9] offset:832
	global_load_dwordx4 v[146:149], v117, s[8:9] offset:848
	v_mul_lo_u16_sdwa v117, v162, s2 dst_sel:DWORD dst_unused:UNUSED_PAD src0_sel:BYTE_0 src1_sel:DWORD
	v_lshrrev_b16_e32 v117, 14, v117
	v_mul_lo_u16_e32 v117, 0x41, v117
	v_sub_u16_e32 v205, v162, v117
	v_lshlrev_b32_sdwa v117, v116, v205 dst_sel:DWORD dst_unused:UNUSED_PAD src0_sel:DWORD src1_sel:BYTE_0
	global_load_dwordx4 v[150:153], v117, s[8:9] offset:848
	global_load_dwordx4 v[154:157], v117, s[8:9] offset:832
	v_add_u16_e32 v117, 0xc3, v104
	v_mul_lo_u16_sdwa v122, v117, s2 dst_sel:DWORD dst_unused:UNUSED_PAD src0_sel:BYTE_0 src1_sel:DWORD
	v_lshrrev_b16_e32 v122, 14, v122
	v_mul_lo_u16_e32 v122, 0x41, v122
	v_sub_u16_e32 v206, v117, v122
	v_lshlrev_b32_sdwa v116, v116, v206 dst_sel:DWORD dst_unused:UNUSED_PAD src0_sel:DWORD src1_sel:BYTE_0
	global_load_dwordx4 v[164:167], v116, s[8:9] offset:848
	global_load_dwordx4 v[168:171], v116, s[8:9] offset:832
	v_add_u32_e32 v116, 0xea, v104
	s_movk_i32 s2, 0xfc1
	v_mul_u32_u24_sdwa v122, v116, s2 dst_sel:DWORD dst_unused:UNUSED_PAD src0_sel:WORD_0 src1_sel:DWORD
	v_lshrrev_b32_e32 v207, 18, v122
	v_mul_lo_u16_e32 v122, 0x41, v207
	v_sub_u16_e32 v208, v116, v122
	v_add_u32_e32 v117, 0x111, v104
	v_lshlrev_b32_e32 v116, 5, v208
	global_load_dwordx4 v[172:175], v116, s[8:9] offset:848
	global_load_dwordx4 v[176:179], v116, s[8:9] offset:832
	v_mul_u32_u24_sdwa v116, v117, s2 dst_sel:DWORD dst_unused:UNUSED_PAD src0_sel:WORD_0 src1_sel:DWORD
	v_lshrrev_b32_e32 v116, 18, v116
	v_mul_lo_u16_e32 v116, 0x41, v116
	v_sub_u16_e32 v209, v117, v116
	v_lshlrev_b32_e32 v116, 5, v209
	global_load_dwordx4 v[180:183], v116, s[8:9] offset:832
	global_load_dwordx4 v[184:187], v116, s[8:9] offset:848
	v_add_u32_e32 v116, 0x138, v104
	v_mul_u32_u24_sdwa v117, v116, s2 dst_sel:DWORD dst_unused:UNUSED_PAD src0_sel:WORD_0 src1_sel:DWORD
	v_lshrrev_b32_e32 v117, 18, v117
	v_mul_lo_u16_e32 v117, 0x41, v117
	v_sub_u16_e32 v210, v116, v117
	v_lshlrev_b32_e32 v116, 5, v210
	global_load_dwordx4 v[188:191], v116, s[8:9] offset:832
	global_load_dwordx4 v[192:195], v116, s[8:9] offset:848
	s_mov_b32 s4, 0xe8584caa
	s_mov_b32 s5, 0xbfebb67a
	;; [unrolled: 1-line block ×4, first 2 shown]
	s_waitcnt vmcnt(0) lgkmcnt(0)
	s_barrier
	v_cmp_lt_u32_e64 s[2:3], 25, v104
	s_movk_i32 s10, 0x618
	v_mul_f64 v[124:125], v[62:63], v[114:115]
	v_mul_f64 v[116:117], v[22:23], v[120:121]
	;; [unrolled: 1-line block ×10, first 2 shown]
	v_fma_f64 v[116:117], v[2:3], v[118:119], v[116:117]
	v_fma_f64 v[122:123], v[22:23], v[118:119], -v[120:121]
	v_mul_f64 v[2:3], v[82:83], v[140:141]
	v_mul_f64 v[22:23], v[76:77], v[144:145]
	v_fma_f64 v[118:119], v[48:49], v[130:131], v[128:129]
	v_fma_f64 v[128:129], v[84:85], v[130:131], -v[132:133]
	v_fma_f64 v[130:131], v[44:45], v[134:135], v[200:201]
	v_mul_f64 v[44:45], v[40:41], v[144:145]
	v_fma_f64 v[124:125], v[18:19], v[112:113], v[124:125]
	v_mul_f64 v[18:19], v[46:47], v[140:141]
	v_fma_f64 v[112:113], v[62:63], v[112:113], -v[114:115]
	v_fma_f64 v[114:115], v[50:51], v[126:127], v[196:197]
	v_fma_f64 v[120:121], v[46:47], v[138:139], v[2:3]
	v_mul_f64 v[2:3], v[72:73], v[148:149]
	v_fma_f64 v[50:51], v[40:41], v[142:143], v[22:23]
	v_fma_f64 v[76:77], v[76:77], v[142:143], -v[44:45]
	v_mul_f64 v[40:41], v[42:43], v[156:157]
	v_mul_f64 v[44:45], v[74:75], v[152:153]
	v_fma_f64 v[48:49], v[82:83], v[138:139], -v[18:19]
	v_mul_f64 v[18:19], v[36:37], v[148:149]
	v_mul_f64 v[22:23], v[78:79], v[156:157]
	v_fma_f64 v[84:85], v[80:81], v[134:135], -v[136:137]
	v_fma_f64 v[126:127], v[86:87], v[126:127], -v[198:199]
	v_fma_f64 v[80:81], v[36:37], v[146:147], v[2:3]
	v_mul_f64 v[2:3], v[38:39], v[152:153]
	v_mul_f64 v[36:37], v[68:69], v[170:171]
	v_fma_f64 v[86:87], v[78:79], v[154:155], -v[40:41]
	v_fma_f64 v[78:79], v[38:39], v[150:151], v[44:45]
	v_mul_f64 v[38:39], v[64:65], v[166:167]
	v_fma_f64 v[72:73], v[72:73], v[146:147], -v[18:19]
	v_mul_f64 v[18:19], v[28:29], v[170:171]
	v_fma_f64 v[82:83], v[42:43], v[154:155], v[22:23]
	v_mul_f64 v[40:41], v[70:71], v[178:179]
	v_mul_f64 v[42:43], v[30:31], v[178:179]
	v_fma_f64 v[62:63], v[74:75], v[150:151], -v[2:3]
	v_fma_f64 v[2:3], v[28:29], v[168:169], v[36:37]
	v_mul_f64 v[36:37], v[24:25], v[166:167]
	v_fma_f64 v[28:29], v[24:25], v[164:165], v[38:39]
	v_mul_f64 v[24:25], v[26:27], v[174:175]
	v_fma_f64 v[22:23], v[68:69], v[168:169], -v[18:19]
	v_mul_f64 v[38:39], v[60:61], v[182:183]
	v_fma_f64 v[30:31], v[30:31], v[176:177], v[40:41]
	v_fma_f64 v[44:45], v[70:71], v[176:177], -v[42:43]
	v_mul_f64 v[40:41], v[110:111], v[186:187]
	v_mul_f64 v[42:43], v[108:109], v[190:191]
	;; [unrolled: 1-line block ×4, first 2 shown]
	v_fma_f64 v[18:19], v[64:65], v[164:165], -v[36:37]
	v_mul_f64 v[36:37], v[16:17], v[182:183]
	v_fma_f64 v[24:25], v[66:67], v[172:173], -v[24:25]
	v_add_f64 v[66:67], v[116:117], v[124:125]
	v_fma_f64 v[16:17], v[16:17], v[180:181], v[38:39]
	v_mul_f64 v[38:39], v[96:97], v[186:187]
	v_fma_f64 v[64:65], v[96:97], v[184:185], v[40:41]
	v_mul_f64 v[70:71], v[94:95], v[194:195]
	v_add_f64 v[74:75], v[92:93], v[116:117]
	v_fma_f64 v[40:41], v[100:101], v[188:189], -v[42:43]
	v_fma_f64 v[42:43], v[94:95], v[192:193], v[68:69]
	v_add_f64 v[68:69], v[118:119], v[130:131]
	v_fma_f64 v[26:27], v[26:27], v[172:173], v[46:47]
	v_fma_f64 v[46:47], v[60:61], v[180:181], -v[36:37]
	v_mul_f64 v[36:37], v[100:101], v[190:191]
	v_fma_f64 v[66:67], v[66:67], -0.5, v[92:93]
	v_add_f64 v[92:93], v[122:123], -v[112:113]
	v_fma_f64 v[60:61], v[110:111], v[184:185], -v[38:39]
	v_fma_f64 v[38:39], v[102:103], v[192:193], -v[70:71]
	v_add_f64 v[70:71], v[74:75], v[124:125]
	v_add_f64 v[74:75], v[12:13], v[118:119]
	;; [unrolled: 1-line block ×3, first 2 shown]
	v_fma_f64 v[12:13], v[68:69], -0.5, v[12:13]
	v_add_f64 v[68:69], v[128:129], -v[84:85]
	v_fma_f64 v[36:37], v[108:109], v[188:189], v[36:37]
	v_fma_f64 v[94:95], v[92:93], s[4:5], v[66:67]
	;; [unrolled: 1-line block ×3, first 2 shown]
	v_add_f64 v[92:93], v[50:51], v[80:81]
	v_add_f64 v[108:109], v[82:83], v[78:79]
	;; [unrolled: 1-line block ×3, first 2 shown]
	v_fma_f64 v[14:15], v[96:97], -0.5, v[14:15]
	v_add_f64 v[96:97], v[126:127], -v[48:49]
	v_fma_f64 v[102:103], v[68:69], s[4:5], v[12:13]
	v_fma_f64 v[12:13], v[68:69], s[6:7], v[12:13]
	v_add_f64 v[68:69], v[8:9], v[50:51]
	v_fma_f64 v[8:9], v[92:93], -0.5, v[8:9]
	v_add_f64 v[92:93], v[76:77], -v[72:73]
	v_add_f64 v[132:133], v[10:11], v[82:83]
	v_fma_f64 v[10:11], v[108:109], -0.5, v[10:11]
	v_add_f64 v[108:109], v[86:87], -v[62:63]
	v_fma_f64 v[110:111], v[96:97], s[4:5], v[14:15]
	v_fma_f64 v[14:15], v[96:97], s[6:7], v[14:15]
	v_add_f64 v[96:97], v[68:69], v[80:81]
	v_add_f64 v[68:69], v[2:3], v[28:29]
	v_fma_f64 v[134:135], v[92:93], s[4:5], v[8:9]
	v_fma_f64 v[8:9], v[92:93], s[6:7], v[8:9]
	v_add_f64 v[92:93], v[132:133], v[78:79]
	v_add_f64 v[132:133], v[30:31], v[26:27]
	v_fma_f64 v[136:137], v[108:109], s[4:5], v[10:11]
	v_fma_f64 v[10:11], v[108:109], s[6:7], v[10:11]
	v_add_f64 v[108:109], v[16:17], v[64:65]
	v_add_f64 v[74:75], v[74:75], v[130:131]
	v_add_f64 v[100:101], v[100:101], v[120:121]
	v_add_f64 v[138:139], v[4:5], v[2:3]
	v_fma_f64 v[4:5], v[68:69], -0.5, v[4:5]
	v_add_f64 v[68:69], v[22:23], -v[18:19]
	ds_write2_b64 v158, v[70:71], v[94:95] offset1:65
	ds_write_b64 v158, v[66:67] offset:1040
	v_mov_b32_e32 v66, 0x618
	v_add_f64 v[140:141], v[6:7], v[30:31]
	v_fma_f64 v[6:7], v[132:133], -0.5, v[6:7]
	v_add_f64 v[132:133], v[44:45], -v[24:25]
	v_add_f64 v[142:143], v[0:1], v[16:17]
	v_fma_f64 v[0:1], v[108:109], -0.5, v[0:1]
	v_add_f64 v[108:109], v[46:47], -v[60:61]
	v_cndmask_b32_e64 v66, 0, v66, s[2:3]
	v_add_u32_e32 v66, 0, v66
	v_lshlrev_b32_e32 v67, 3, v202
	v_add3_u32 v67, v66, v67, v163
	ds_write2_b64 v67, v[74:75], v[102:103] offset1:65
	ds_write_b64 v67, v[12:13] offset:1040
	v_add_u32_e32 v12, 0x400, v158
	v_mov_b32_e32 v13, 3
	v_add_f64 v[138:139], v[138:139], v[28:29]
	v_fma_f64 v[144:145], v[68:69], s[4:5], v[4:5]
	ds_write2_b64 v12, v[100:101], v[110:111] offset0:80 offset1:145
	ds_write_b64 v158, v[14:15] offset:2704
	v_mad_u32_u24 v12, v203, s10, 0
	v_lshlrev_b32_sdwa v14, v13, v204 dst_sel:DWORD dst_unused:UNUSED_PAD src0_sel:DWORD src1_sel:BYTE_0
	v_fma_f64 v[4:5], v[68:69], s[6:7], v[4:5]
	v_add3_u32 v69, v12, v14, v163
	ds_write2_b64 v69, v[96:97], v[134:135] offset1:65
	ds_write_b64 v69, v[8:9] offset:1040
	v_lshlrev_b32_sdwa v8, v13, v205 dst_sel:DWORD dst_unused:UNUSED_PAD src0_sel:DWORD src1_sel:BYTE_0
	v_add3_u32 v70, 0, v8, v163
	v_add_f64 v[140:141], v[140:141], v[26:27]
	v_fma_f64 v[146:147], v[132:133], s[4:5], v[6:7]
	v_fma_f64 v[6:7], v[132:133], s[6:7], v[6:7]
	v_add_f64 v[132:133], v[142:143], v[64:65]
	v_fma_f64 v[142:143], v[108:109], s[4:5], v[0:1]
	v_add_u32_e32 v8, 0x800, v70
	v_fma_f64 v[0:1], v[108:109], s[6:7], v[0:1]
	ds_write2_b64 v8, v[92:93], v[136:137] offset0:134 offset1:199
	ds_write_b64 v70, v[10:11] offset:4160
	v_lshlrev_b32_sdwa v8, v13, v206 dst_sel:DWORD dst_unused:UNUSED_PAD src0_sel:DWORD src1_sel:BYTE_0
	v_add3_u32 v71, 0, v8, v163
	v_add_u32_e32 v8, 0x1000, v71
	ds_write2_b64 v8, v[138:139], v[144:145] offset0:73 offset1:138
	ds_write_b64 v71, v[4:5] offset:5720
	v_mad_u32_u24 v4, v207, s10, 0
	v_lshlrev_b32_e32 v5, 3, v208
	v_add3_u32 v74, v4, v5, v163
	v_lshlrev_b32_e32 v4, 3, v209
	v_add3_u32 v75, 0, v4, v163
	v_add_u32_e32 v68, 0x68, v158
	v_add_u32_e32 v4, 0x1800, v75
	v_lshlrev_b32_e32 v66, 3, v210
	ds_write2_b64 v74, v[140:141], v[146:147] offset1:65
	ds_write_b64 v74, v[6:7] offset:1040
	ds_write2_b64 v4, v[132:133], v[142:143] offset0:12 offset1:77
	ds_write_b64 v75, v[0:1] offset:7280
	s_and_saveexec_b64 s[2:3], s[0:1]
	s_cbranch_execz .LBB0_22
; %bb.21:
	v_add_f64 v[0:1], v[36:37], v[42:43]
	v_add_f64 v[4:5], v[40:41], -v[38:39]
	v_add_f64 v[6:7], v[88:89], v[36:37]
	v_fma_f64 v[0:1], v[0:1], -0.5, v[88:89]
	v_add_f64 v[6:7], v[6:7], v[42:43]
	v_fma_f64 v[8:9], v[4:5], s[4:5], v[0:1]
	v_fma_f64 v[0:1], v[4:5], s[6:7], v[0:1]
	v_add3_u32 v4, 0, v66, v163
	v_add_u32_e32 v5, 0x1800, v4
	ds_write2_b64 v5, v[6:7], v[8:9] offset0:12 offset1:77
	ds_write_b64 v4, v[0:1] offset:7280
.LBB0_22:
	s_or_b64 exec, exec, s[2:3]
	v_add_f64 v[0:1], v[122:123], v[112:113]
	v_add_f64 v[4:5], v[128:129], v[84:85]
	v_add_f64 v[8:9], v[116:117], -v[124:125]
	v_add_f64 v[12:13], v[118:119], -v[130:131]
	v_add_f64 v[6:7], v[98:99], v[122:123]
	v_add_f64 v[14:15], v[126:127], v[48:49]
	;; [unrolled: 1-line block ×4, first 2 shown]
	v_fma_f64 v[0:1], v[0:1], -0.5, v[98:99]
	v_fma_f64 v[4:5], v[4:5], -0.5, v[56:57]
	v_add_f64 v[88:89], v[58:59], v[126:127]
	v_add_f64 v[56:57], v[114:115], -v[120:121]
	v_add_f64 v[94:95], v[6:7], v[112:113]
	v_fma_f64 v[6:7], v[14:15], -0.5, v[58:59]
	v_add_f64 v[14:15], v[82:83], -v[78:79]
	v_add_f64 v[84:85], v[10:11], v[84:85]
	v_fma_f64 v[96:97], v[8:9], s[6:7], v[0:1]
	v_fma_f64 v[98:99], v[8:9], s[4:5], v[0:1]
	v_add_f64 v[0:1], v[86:87], v[62:63]
	v_fma_f64 v[100:101], v[12:13], s[6:7], v[4:5]
	v_fma_f64 v[102:103], v[12:13], s[4:5], v[4:5]
	v_add_f64 v[4:5], v[52:53], v[76:77]
	v_fma_f64 v[8:9], v[92:93], -0.5, v[52:53]
	v_add_f64 v[10:11], v[50:51], -v[80:81]
	v_add_f64 v[52:53], v[88:89], v[48:49]
	v_fma_f64 v[76:77], v[56:57], s[6:7], v[6:7]
	v_fma_f64 v[0:1], v[0:1], -0.5, v[54:55]
	v_add_f64 v[12:13], v[54:55], v[86:87]
	v_fma_f64 v[54:55], v[56:57], s[4:5], v[6:7]
	v_add_f64 v[72:73], v[4:5], v[72:73]
	v_add_f64 v[4:5], v[22:23], v[18:19]
	;; [unrolled: 1-line block ×3, first 2 shown]
	v_fma_f64 v[78:79], v[10:11], s[6:7], v[8:9]
	v_fma_f64 v[82:83], v[10:11], s[4:5], v[8:9]
	;; [unrolled: 1-line block ×4, first 2 shown]
	v_add_f64 v[0:1], v[46:47], v[60:61]
	v_add_f64 v[8:9], v[32:33], v[22:23]
	v_fma_f64 v[4:5], v[4:5], -0.5, v[32:33]
	v_add_f64 v[2:3], v[2:3], -v[28:29]
	v_add_f64 v[14:15], v[20:21], v[46:47]
	v_add_f64 v[16:17], v[16:17], -v[64:65]
	v_add_f64 v[86:87], v[12:13], v[62:63]
	v_add_f64 v[10:11], v[34:35], v[44:45]
	v_fma_f64 v[0:1], v[0:1], -0.5, v[20:21]
	v_fma_f64 v[6:7], v[6:7], -0.5, v[34:35]
	v_add_f64 v[12:13], v[30:31], -v[26:27]
	v_add_f64 v[44:45], v[8:9], v[18:19]
	v_fma_f64 v[46:47], v[2:3], s[6:7], v[4:5]
	v_fma_f64 v[64:65], v[2:3], s[4:5], v[4:5]
	v_add_f64 v[114:115], v[14:15], v[60:61]
	v_add_u32_e32 v28, 0x800, v158
	v_fma_f64 v[116:117], v[16:17], s[6:7], v[0:1]
	v_add_u32_e32 v29, 0x1000, v158
	v_add_u32_e32 v4, 0x1400, v158
	;; [unrolled: 1-line block ×3, first 2 shown]
	v_add_f64 v[108:109], v[10:11], v[24:25]
	v_fma_f64 v[110:111], v[12:13], s[6:7], v[6:7]
	v_fma_f64 v[112:113], v[12:13], s[4:5], v[6:7]
	;; [unrolled: 1-line block ×3, first 2 shown]
	s_waitcnt lgkmcnt(0)
	s_barrier
	ds_read_b64 v[80:81], v105
	ds_read2_b64 v[0:3], v158 offset0:195 offset1:234
	ds_read2_b64 v[12:15], v28 offset0:95 offset1:134
	;; [unrolled: 1-line block ×10, first 2 shown]
	v_add_u32_e32 v28, 0xc00, v158
	ds_read2_b64 v[32:35], v28 offset0:123 offset1:162
	ds_read2_b64 v[28:31], v30 offset0:129 offset1:168
	s_waitcnt lgkmcnt(0)
	s_barrier
	ds_write2_b64 v158, v[94:95], v[96:97] offset1:65
	ds_write_b64 v158, v[98:99] offset:1040
	ds_write2_b64 v67, v[84:85], v[100:101] offset1:65
	ds_write_b64 v67, v[102:103] offset:1040
	v_add_u32_e32 v67, 0x400, v68
	ds_write2_b64 v67, v[52:53], v[76:77] offset0:67 offset1:132
	ds_write_b64 v68, v[54:55] offset:2600
	ds_write2_b64 v69, v[72:73], v[78:79] offset1:65
	ds_write_b64 v69, v[82:83] offset:1040
	v_add_u32_e32 v52, 0x800, v70
	ds_write2_b64 v52, v[86:87], v[88:89] offset0:134 offset1:199
	ds_write_b64 v70, v[92:93] offset:4160
	v_add_u32_e32 v52, 0x1000, v71
	ds_write2_b64 v52, v[44:45], v[46:47] offset0:73 offset1:138
	ds_write_b64 v71, v[64:65] offset:5720
	ds_write2_b64 v74, v[108:109], v[110:111] offset1:65
	ds_write_b64 v74, v[112:113] offset:1040
	v_add_u32_e32 v44, 0x1800, v75
	ds_write2_b64 v44, v[114:115], v[116:117] offset0:12 offset1:77
	ds_write_b64 v75, v[118:119] offset:7280
	s_and_saveexec_b64 s[2:3], s[0:1]
	s_cbranch_execz .LBB0_24
; %bb.23:
	v_add_f64 v[44:45], v[40:41], v[38:39]
	v_add_f64 v[40:41], v[90:91], v[40:41]
	v_add_f64 v[36:37], v[36:37], -v[42:43]
	s_mov_b32 s1, 0x3febb67a
	s_mov_b32 s0, 0xe8584caa
	v_fma_f64 v[42:43], v[44:45], -0.5, v[90:91]
	v_add_f64 v[38:39], v[40:41], v[38:39]
	v_fma_f64 v[40:41], v[36:37], s[0:1], v[42:43]
	s_mov_b32 s1, 0xbfebb67a
	v_fma_f64 v[36:37], v[36:37], s[0:1], v[42:43]
	v_add3_u32 v42, 0, v66, v163
	v_add_u32_e32 v43, 0x1800, v42
	ds_write2_b64 v43, v[38:39], v[40:41] offset0:12 offset1:77
	ds_write_b64 v42, v[36:37] offset:7280
.LBB0_24:
	s_or_b64 exec, exec, s[2:3]
	s_waitcnt lgkmcnt(0)
	s_barrier
	s_and_saveexec_b64 s[0:1], vcc
	s_cbranch_execz .LBB0_26
; %bb.25:
	v_lshlrev_b32_e32 v78, 2, v162
	v_mov_b32_e32 v79, 0
	v_lshlrev_b64 v[36:37], 4, v[78:79]
	v_mov_b32_e32 v74, s9
	v_add_co_u32_e32 v64, vcc, s8, v36
	v_addc_co_u32_e32 v65, vcc, v74, v37, vcc
	global_load_dwordx4 v[36:39], v[64:65], off offset:2960
	global_load_dwordx4 v[40:43], v[64:65], off offset:2944
	;; [unrolled: 1-line block ×4, first 2 shown]
	v_lshlrev_b32_e32 v78, 2, v161
	v_lshlrev_b64 v[64:65], 4, v[78:79]
	v_add_u32_e32 v103, 0x800, v158
	v_add_co_u32_e32 v64, vcc, s8, v64
	v_addc_co_u32_e32 v65, vcc, v74, v65, vcc
	global_load_dwordx4 v[83:86], v[64:65], off offset:2928
	global_load_dwordx4 v[87:90], v[64:65], off offset:2912
	global_load_dwordx4 v[91:94], v[64:65], off offset:2944
	global_load_dwordx4 v[95:98], v[64:65], off offset:2960
	v_add_u32_e32 v64, 0xc00, v158
	v_add_u32_e32 v65, 0x1400, v158
	;; [unrolled: 1-line block ×3, first 2 shown]
	ds_read2_b64 v[99:102], v158 offset0:117 offset1:156
	ds_read2_b64 v[108:111], v64 offset0:123 offset1:162
	;; [unrolled: 1-line block ×5, first 2 shown]
	v_lshlrev_b32_e32 v78, 2, v160
	v_lshlrev_b64 v[64:65], 4, v[78:79]
	v_add_u32_e32 v82, 0x1000, v158
	v_add_co_u32_e32 v64, vcc, s8, v64
	v_addc_co_u32_e32 v65, vcc, v74, v65, vcc
	ds_read2_b64 v[116:119], v103 offset0:17 offset1:56
	ds_read2_b64 v[120:123], v82 offset0:151 offset1:190
	global_load_dwordx4 v[124:127], v[64:65], off offset:2960
	global_load_dwordx4 v[75:78], v[64:65], off offset:2944
	;; [unrolled: 1-line block ×4, first 2 shown]
	s_mov_b32 s6, 0x134454ff
	s_mov_b32 s7, 0x3fee6f0e
	;; [unrolled: 1-line block ×10, first 2 shown]
	s_movk_i32 s9, 0x1000
	s_waitcnt vmcnt(11)
	v_mul_f64 v[140:141], v[30:31], v[38:39]
	s_waitcnt vmcnt(10)
	v_mul_f64 v[138:139], v[4:5], v[42:43]
	;; [unrolled: 2-line block ×4, first 2 shown]
	s_waitcnt lgkmcnt(5)
	v_mul_f64 v[46:47], v[110:111], v[46:47]
	s_waitcnt lgkmcnt(4)
	v_mul_f64 v[54:55], v[66:67], v[54:55]
	;; [unrolled: 2-line block ×3, first 2 shown]
	v_mul_f64 v[42:43], v[70:71], v[42:43]
	s_waitcnt vmcnt(7)
	v_mul_f64 v[142:143], v[32:33], v[85:86]
	s_waitcnt vmcnt(6)
	;; [unrolled: 2-line block ×3, first 2 shown]
	v_mul_f64 v[146:147], v[62:63], v[93:94]
	v_mul_f64 v[85:86], v[108:109], v[85:86]
	s_waitcnt lgkmcnt(0)
	v_mul_f64 v[93:94], v[122:123], v[93:94]
	v_fma_f64 v[64:65], v[110:111], v[44:45], -v[64:65]
	v_fma_f64 v[66:67], v[66:67], v[52:53], -v[136:137]
	;; [unrolled: 1-line block ×4, first 2 shown]
	v_fma_f64 v[34:35], v[34:35], v[44:45], v[46:47]
	v_fma_f64 v[12:13], v[12:13], v[52:53], v[54:55]
	;; [unrolled: 1-line block ×3, first 2 shown]
	v_mul_f64 v[89:90], v[118:119], v[89:90]
	v_fma_f64 v[4:5], v[4:5], v[40:41], v[42:43]
	v_fma_f64 v[52:53], v[118:119], v[87:88], -v[144:145]
	v_fma_f64 v[118:119], v[32:33], v[83:84], v[85:86]
	v_fma_f64 v[136:137], v[62:63], v[91:92], v[93:94]
	v_add_f64 v[30:31], v[64:65], -v[66:67]
	v_add_f64 v[32:33], v[70:71], -v[110:111]
	v_add_f64 v[38:39], v[66:67], v[110:111]
	v_add_f64 v[42:43], v[66:67], -v[64:65]
	v_add_f64 v[46:47], v[110:111], -v[70:71]
	v_add_f64 v[54:55], v[64:65], v[70:71]
	v_add_f64 v[62:63], v[66:67], v[101:102]
	;; [unrolled: 1-line block ×3, first 2 shown]
	s_waitcnt vmcnt(4)
	v_mul_f64 v[148:149], v[28:29], v[97:98]
	v_add_f64 v[36:37], v[34:35], -v[4:5]
	v_add_f64 v[40:41], v[12:13], -v[44:45]
	;; [unrolled: 1-line block ×6, first 2 shown]
	v_add_f64 v[12:13], v[58:59], v[12:13]
	v_add_f64 v[30:31], v[30:31], v[32:33]
	v_fma_f64 v[32:33], v[38:39], -0.5, v[101:102]
	v_add_f64 v[42:43], v[42:43], v[46:47]
	v_fma_f64 v[38:39], v[54:55], -0.5, v[101:102]
	;; [unrolled: 2-line block ×3, first 2 shown]
	v_mul_f64 v[97:98], v[112:113], v[97:98]
	v_fma_f64 v[112:113], v[112:113], v[95:96], -v[148:149]
	v_add_f64 v[66:67], v[66:67], -v[110:111]
	v_add_f64 v[148:149], v[34:35], v[4:5]
	v_add_f64 v[54:55], v[85:86], v[93:94]
	;; [unrolled: 1-line block ×3, first 2 shown]
	v_fma_f64 v[34:35], v[36:37], s[6:7], v[32:33]
	v_fma_f64 v[32:33], v[36:37], s[10:11], v[32:33]
	;; [unrolled: 1-line block ×6, first 2 shown]
	v_fma_f64 v[58:59], v[148:149], -0.5, v[58:59]
	v_add_f64 v[144:145], v[44:45], -v[4:5]
	v_fma_f64 v[34:35], v[40:41], s[2:3], v[34:35]
	v_fma_f64 v[32:33], v[40:41], s[4:5], v[32:33]
	;; [unrolled: 1-line block ×6, first 2 shown]
	v_add_f64 v[46:47], v[70:71], v[46:47]
	v_fma_f64 v[70:71], v[66:67], s[6:7], v[58:59]
	v_fma_f64 v[58:59], v[66:67], s[10:11], v[58:59]
	;; [unrolled: 1-line block ×8, first 2 shown]
	v_fma_f64 v[54:55], v[108:109], v[83:84], -v[142:143]
	v_fma_f64 v[62:63], v[122:123], v[91:92], -v[146:147]
	v_add_f64 v[150:151], v[52:53], v[112:113]
	v_add_f64 v[64:65], v[140:141], v[144:145]
	v_fma_f64 v[122:123], v[50:51], v[87:88], v[89:90]
	v_fma_f64 v[140:141], v[28:29], v[95:96], v[97:98]
	;; [unrolled: 1-line block ×4, first 2 shown]
	v_add_f64 v[4:5], v[12:13], v[4:5]
	v_add_f64 v[12:13], v[54:55], -v[52:53]
	v_add_f64 v[50:51], v[62:63], -v[112:113]
	v_add_f64 v[70:71], v[54:55], v[62:63]
	v_add_f64 v[66:67], v[118:119], -v[136:137]
	v_fma_f64 v[83:84], v[150:151], -0.5, v[99:100]
	v_add_f64 v[85:86], v[122:123], -v[140:141]
	v_fma_f64 v[28:29], v[64:65], s[0:1], v[28:29]
	v_fma_f64 v[40:41], v[64:65], s[0:1], v[40:41]
	v_add_f64 v[64:65], v[52:53], v[99:100]
	v_add_f64 v[12:13], v[12:13], v[50:51]
	v_fma_f64 v[50:51], v[70:71], -0.5, v[99:100]
	v_add_f64 v[138:139], v[54:55], -v[62:63]
	v_fma_f64 v[58:59], v[66:67], s[6:7], v[83:84]
	v_fma_f64 v[70:71], v[66:67], s[10:11], v[83:84]
	v_add_f64 v[83:84], v[52:53], -v[54:55]
	v_add_f64 v[87:88], v[112:113], -v[62:63]
	v_add_f64 v[54:55], v[54:55], v[64:65]
	v_add_f64 v[44:45], v[4:5], v[44:45]
	v_fma_f64 v[89:90], v[85:86], s[10:11], v[50:51]
	v_fma_f64 v[50:51], v[85:86], s[6:7], v[50:51]
	v_add_f64 v[4:5], v[122:123], v[140:141]
	v_fma_f64 v[58:59], v[85:86], s[2:3], v[58:59]
	v_fma_f64 v[70:71], v[85:86], s[4:5], v[70:71]
	v_add_f64 v[83:84], v[83:84], v[87:88]
	v_add_f64 v[87:88], v[62:63], v[54:55]
	v_add_f64 v[64:65], v[118:119], -v[122:123]
	v_fma_f64 v[85:86], v[66:67], s[2:3], v[89:90]
	v_fma_f64 v[66:67], v[66:67], s[4:5], v[50:51]
	v_add_f64 v[89:90], v[118:119], v[136:137]
	v_fma_f64 v[4:5], v[4:5], -0.5, v[56:57]
	v_add_f64 v[91:92], v[136:137], -v[140:141]
	v_fma_f64 v[54:55], v[12:13], s[0:1], v[58:59]
	v_fma_f64 v[58:59], v[12:13], s[0:1], v[70:71]
	v_add_f64 v[93:94], v[52:53], -v[112:113]
	v_fma_f64 v[50:51], v[83:84], s[0:1], v[85:86]
	v_fma_f64 v[62:63], v[83:84], s[0:1], v[66:67]
	v_fma_f64 v[12:13], v[89:90], -0.5, v[56:57]
	v_add_f64 v[66:67], v[112:113], v[87:88]
	ds_read2_b64 v[83:86], v152 offset0:51 offset1:90
	ds_read2_b64 v[87:90], v103 offset0:173 offset1:212
	v_fma_f64 v[52:53], v[138:139], s[10:11], v[4:5]
	v_add_f64 v[64:65], v[64:65], v[91:92]
	v_fma_f64 v[4:5], v[138:139], s[6:7], v[4:5]
	s_waitcnt vmcnt(0)
	v_mul_f64 v[91:92], v[48:49], v[134:135]
	v_mul_f64 v[95:96], v[22:23], v[126:127]
	s_waitcnt lgkmcnt(0)
	v_mul_f64 v[99:100], v[89:90], v[130:131]
	v_mul_f64 v[101:102], v[120:121], v[77:78]
	;; [unrolled: 1-line block ×3, first 2 shown]
	v_lshlrev_b32_e32 v78, 2, v159
	v_lshlrev_b64 v[77:78], 4, v[78:79]
	v_fma_f64 v[52:53], v[93:94], s[4:5], v[52:53]
	v_add_co_u32_e32 v77, vcc, s8, v77
	v_addc_co_u32_e32 v78, vcc, v74, v78, vcc
	v_fma_f64 v[4:5], v[93:94], s[2:3], v[4:5]
	v_fma_f64 v[144:145], v[93:94], s[6:7], v[12:13]
	;; [unrolled: 1-line block ×3, first 2 shown]
	v_fma_f64 v[148:149], v[116:117], v[132:133], -v[91:92]
	v_fma_f64 v[152:153], v[85:86], v[124:125], -v[95:96]
	global_load_dwordx4 v[91:94], v[77:78], off offset:2928
	global_load_dwordx4 v[95:98], v[77:78], off offset:2912
	v_fma_f64 v[154:155], v[26:27], v[128:129], v[99:100]
	v_fma_f64 v[156:157], v[60:61], v[75:76], v[101:102]
	global_load_dwordx4 v[99:102], v[77:78], off offset:2960
	v_add_f64 v[46:47], v[110:111], v[46:47]
	global_load_dwordx4 v[108:111], v[77:78], off offset:2944
	v_mul_f64 v[146:147], v[26:27], v[130:131]
	v_add_f64 v[26:27], v[148:149], v[152:153]
	v_mul_f64 v[60:61], v[116:117], v[134:135]
	v_mul_f64 v[77:78], v[85:86], v[126:127]
	ds_read2_b64 v[112:115], v158 offset0:39 offset1:78
	v_add_f64 v[70:71], v[122:123], -v[118:119]
	v_add_f64 v[142:143], v[140:141], -v[136:137]
	v_add_f64 v[56:57], v[56:57], v[122:123]
	v_fma_f64 v[85:86], v[89:90], v[128:129], -v[146:147]
	v_fma_f64 v[89:90], v[120:121], v[75:76], -v[150:151]
	v_add_f64 v[116:117], v[154:155], -v[156:157]
	s_waitcnt lgkmcnt(0)
	v_fma_f64 v[26:27], v[26:27], -0.5, v[114:115]
	v_fma_f64 v[130:131], v[48:49], v[132:133], v[60:61]
	v_fma_f64 v[146:147], v[22:23], v[124:125], v[77:78]
	v_add_f64 v[22:23], v[70:71], v[142:143]
	v_add_f64 v[70:71], v[118:119], v[56:57]
	v_fma_f64 v[48:49], v[138:139], s[4:5], v[144:145]
	v_add_f64 v[122:123], v[85:86], v[89:90]
	v_fma_f64 v[12:13], v[138:139], s[2:3], v[12:13]
	v_add_f64 v[75:76], v[85:86], -v[148:149]
	v_add_f64 v[77:78], v[89:90], -v[152:153]
	v_fma_f64 v[118:119], v[116:117], s[6:7], v[26:27]
	v_add_f64 v[120:121], v[130:131], -v[146:147]
	v_fma_f64 v[26:27], v[116:117], s[10:11], v[26:27]
	v_fma_f64 v[56:57], v[64:65], s[0:1], v[4:5]
	v_add_f64 v[4:5], v[70:71], v[136:137]
	v_fma_f64 v[70:71], v[122:123], -0.5, v[114:115]
	v_add_f64 v[114:115], v[148:149], v[114:115]
	v_fma_f64 v[48:49], v[22:23], s[0:1], v[48:49]
	v_fma_f64 v[60:61], v[22:23], s[0:1], v[12:13]
	v_add_f64 v[12:13], v[75:76], v[77:78]
	v_fma_f64 v[22:23], v[120:121], s[2:3], v[118:119]
	v_fma_f64 v[26:27], v[120:121], s[4:5], v[26:27]
	v_add_f64 v[118:119], v[148:149], -v[85:86]
	v_add_f64 v[122:123], v[152:153], -v[89:90]
	v_add_f64 v[124:125], v[130:131], v[146:147]
	v_add_f64 v[114:115], v[85:86], v[114:115]
	v_fma_f64 v[52:53], v[64:65], s[0:1], v[52:53]
	v_add_f64 v[64:65], v[4:5], v[140:141]
	v_fma_f64 v[76:77], v[12:13], s[0:1], v[22:23]
	v_fma_f64 v[22:23], v[120:121], s[10:11], v[70:71]
	v_fma_f64 v[70:71], v[120:121], s[6:7], v[70:71]
	v_fma_f64 v[4:5], v[12:13], s[0:1], v[26:27]
	v_add_f64 v[26:27], v[118:119], v[122:123]
	v_fma_f64 v[12:13], v[124:125], -0.5, v[10:11]
	v_add_f64 v[85:86], v[85:86], -v[89:90]
	v_add_f64 v[118:119], v[154:155], v[156:157]
	v_add_f64 v[122:123], v[154:155], -v[130:131]
	v_add_f64 v[124:125], v[156:157], -v[146:147]
	v_lshlrev_b32_e32 v78, 2, v104
	v_add_f64 v[89:90], v[89:90], v[114:115]
	v_lshlrev_b64 v[114:115], 4, v[78:79]
	v_fma_f64 v[22:23], v[116:117], s[2:3], v[22:23]
	v_add_co_u32_e32 v128, vcc, s8, v114
	v_addc_co_u32_e32 v129, vcc, v74, v115, vcc
	v_fma_f64 v[70:71], v[116:117], s[4:5], v[70:71]
	v_add_f64 v[132:133], v[148:149], -v[152:153]
	v_fma_f64 v[126:127], v[85:86], s[10:11], v[12:13]
	v_fma_f64 v[134:135], v[118:119], -0.5, v[10:11]
	global_load_dwordx4 v[114:117], v[128:129], off offset:2928
	global_load_dwordx4 v[118:121], v[128:129], off offset:2912
	v_add_f64 v[138:139], v[122:123], v[124:125]
	global_load_dwordx4 v[122:125], v[128:129], off offset:2960
	v_add_f64 v[140:141], v[130:131], -v[154:155]
	v_add_f64 v[142:143], v[146:147], -v[156:157]
	v_fma_f64 v[136:137], v[85:86], s[6:7], v[12:13]
	v_fma_f64 v[74:75], v[132:133], s[4:5], v[126:127]
	global_load_dwordx4 v[126:129], v[128:129], off offset:2944
	v_fma_f64 v[144:145], v[132:133], s[6:7], v[134:135]
	v_fma_f64 v[12:13], v[26:27], s[0:1], v[22:23]
	;; [unrolled: 1-line block ×3, first 2 shown]
	v_add_f64 v[26:27], v[152:153], v[89:90]
	v_add_f64 v[89:90], v[140:141], v[142:143]
	v_fma_f64 v[142:143], v[132:133], s[10:11], v[134:135]
	v_fma_f64 v[70:71], v[132:133], s[2:3], v[136:137]
	v_add_f64 v[10:11], v[10:11], v[130:131]
	v_fma_f64 v[140:141], v[85:86], s[4:5], v[144:145]
	s_waitcnt vmcnt(6)
	v_mul_f64 v[144:145], v[2:3], v[97:98]
	s_waitcnt vmcnt(5)
	v_mul_f64 v[148:149], v[20:21], v[101:102]
	ds_read2_b64 v[130:133], v158 offset0:195 offset1:234
	ds_read2_b64 v[134:137], v82 offset0:73 offset1:112
	v_mul_f64 v[150:151], v[24:25], v[93:94]
	s_waitcnt vmcnt(4)
	v_mul_f64 v[152:153], v[18:19], v[110:111]
	v_fma_f64 v[85:86], v[85:86], s[2:3], v[142:143]
	v_mul_f64 v[93:94], v[87:88], v[93:94]
	s_waitcnt lgkmcnt(1)
	v_fma_f64 v[142:143], v[132:133], v[95:96], -v[144:145]
	s_waitcnt lgkmcnt(0)
	v_mul_f64 v[110:111], v[136:137], v[110:111]
	v_fma_f64 v[144:145], v[83:84], v[99:100], -v[148:149]
	v_mul_f64 v[97:98], v[132:133], v[97:98]
	v_fma_f64 v[87:88], v[87:88], v[91:92], -v[150:151]
	v_fma_f64 v[136:137], v[136:137], v[108:109], -v[152:153]
	v_mul_f64 v[82:83], v[83:84], v[101:102]
	v_fma_f64 v[101:102], v[24:25], v[91:92], v[93:94]
	v_add_f64 v[10:11], v[154:155], v[10:11]
	v_fma_f64 v[108:109], v[18:19], v[108:109], v[110:111]
	v_add_f64 v[18:19], v[142:143], v[144:145]
	v_fma_f64 v[95:96], v[2:3], v[95:96], v[97:98]
	v_add_f64 v[91:92], v[87:88], -v[142:143]
	v_add_f64 v[93:94], v[136:137], -v[144:145]
	v_fma_f64 v[97:98], v[20:21], v[99:100], v[82:83]
	v_add_f64 v[82:83], v[87:88], v[136:137]
	v_add_f64 v[24:25], v[10:11], v[156:157]
	v_add_f64 v[99:100], v[101:102], -v[108:109]
	v_fma_f64 v[18:19], v[18:19], -0.5, v[112:113]
	v_fma_f64 v[2:3], v[138:139], s[0:1], v[70:71]
	v_fma_f64 v[10:11], v[89:90], s[0:1], v[140:141]
	;; [unrolled: 1-line block ×3, first 2 shown]
	v_add_f64 v[70:71], v[95:96], -v[97:98]
	v_fma_f64 v[82:83], v[82:83], -0.5, v[112:113]
	v_add_f64 v[89:90], v[91:92], v[93:94]
	v_add_f64 v[91:92], v[95:96], v[97:98]
	v_fma_f64 v[84:85], v[99:100], s[6:7], v[18:19]
	v_fma_f64 v[18:19], v[99:100], s[10:11], v[18:19]
	v_add_f64 v[112:113], v[142:143], v[112:113]
	v_fma_f64 v[74:75], v[138:139], s[0:1], v[74:75]
	v_add_f64 v[93:94], v[142:143], -v[87:88]
	v_add_f64 v[110:111], v[144:145], -v[136:137]
	v_fma_f64 v[132:133], v[70:71], s[10:11], v[82:83]
	v_fma_f64 v[82:83], v[70:71], s[6:7], v[82:83]
	;; [unrolled: 1-line block ×4, first 2 shown]
	v_fma_f64 v[138:139], v[91:92], -0.5, v[8:9]
	v_add_f64 v[140:141], v[87:88], -v[136:137]
	v_add_f64 v[70:71], v[87:88], v[112:113]
	v_add_f64 v[91:92], v[93:94], v[110:111]
	v_fma_f64 v[86:87], v[99:100], s[2:3], v[132:133]
	v_fma_f64 v[82:83], v[99:100], s[4:5], v[82:83]
	v_add_f64 v[93:94], v[101:102], -v[95:96]
	v_add_f64 v[99:100], v[108:109], -v[97:98]
	;; [unrolled: 1-line block ×3, first 2 shown]
	v_fma_f64 v[112:113], v[140:141], s[10:11], v[138:139]
	v_add_f64 v[132:133], v[136:137], v[70:71]
	v_fma_f64 v[84:85], v[89:90], s[0:1], v[84:85]
	v_fma_f64 v[18:19], v[89:90], s[0:1], v[18:19]
	;; [unrolled: 1-line block ×4, first 2 shown]
	v_add_f64 v[86:87], v[93:94], v[99:100]
	v_add_f64 v[82:83], v[101:102], v[108:109]
	v_fma_f64 v[90:91], v[110:111], s[4:5], v[112:113]
	v_add_f64 v[92:93], v[144:145], v[132:133]
	s_waitcnt vmcnt(2)
	v_mul_f64 v[99:100], v[0:1], v[120:121]
	v_fma_f64 v[112:113], v[140:141], s[6:7], v[138:139]
	s_waitcnt vmcnt(1)
	v_mul_f64 v[132:133], v[6:7], v[124:125]
	v_add_f64 v[136:137], v[95:96], -v[101:102]
	v_add_f64 v[138:139], v[97:98], -v[108:109]
	v_fma_f64 v[142:143], v[82:83], -0.5, v[8:9]
	v_fma_f64 v[82:83], v[86:87], s[0:1], v[90:91]
	v_mul_f64 v[90:91], v[68:69], v[116:117]
	v_fma_f64 v[99:100], v[130:131], v[118:119], -v[99:100]
	s_waitcnt vmcnt(0)
	v_mul_f64 v[144:145], v[134:135], v[128:129]
	v_fma_f64 v[132:133], v[72:73], v[122:123], -v[132:133]
	v_mul_f64 v[116:117], v[14:15], v[116:117]
	v_mul_f64 v[128:129], v[16:17], v[128:129]
	;; [unrolled: 1-line block ×3, first 2 shown]
	v_add_f64 v[8:9], v[8:9], v[95:96]
	v_fma_f64 v[14:15], v[14:15], v[114:115], v[90:91]
	v_mul_f64 v[90:91], v[130:131], v[120:121]
	v_fma_f64 v[144:145], v[16:17], v[126:127], v[144:145]
	v_add_f64 v[16:17], v[99:100], v[132:133]
	ds_read_b64 v[120:121], v105
	v_fma_f64 v[94:95], v[68:69], v[114:115], -v[116:117]
	v_fma_f64 v[114:115], v[134:135], v[126:127], -v[128:129]
	v_fma_f64 v[72:73], v[6:7], v[122:123], v[72:73]
	v_fma_f64 v[6:7], v[110:111], s[10:11], v[142:143]
	;; [unrolled: 1-line block ×3, first 2 shown]
	v_add_f64 v[116:117], v[14:15], -v[144:145]
	s_waitcnt lgkmcnt(0)
	v_fma_f64 v[16:17], v[16:17], -0.5, v[120:121]
	v_add_f64 v[8:9], v[101:102], v[8:9]
	v_fma_f64 v[112:113], v[110:111], s[2:3], v[112:113]
	v_add_f64 v[136:137], v[136:137], v[138:139]
	v_add_f64 v[90:91], v[94:95], -v[99:100]
	v_add_f64 v[101:102], v[114:115], -v[132:133]
	;; [unrolled: 1-line block ×3, first 2 shown]
	v_fma_f64 v[6:7], v[140:141], s[2:3], v[6:7]
	v_fma_f64 v[138:139], v[110:111], s[6:7], v[142:143]
	v_add_f64 v[8:9], v[8:9], v[108:109]
	v_fma_f64 v[108:109], v[116:117], s[10:11], v[16:17]
	v_add_f64 v[110:111], v[94:95], v[114:115]
	v_fma_f64 v[118:119], v[116:117], s[6:7], v[16:17]
	v_fma_f64 v[16:17], v[86:87], s[0:1], v[112:113]
	v_add_f64 v[101:102], v[90:91], v[101:102]
	v_fma_f64 v[86:87], v[136:137], s[0:1], v[6:7]
	v_add_f64 v[126:127], v[0:1], v[72:73]
	v_add_f64 v[90:91], v[8:9], v[97:98]
	v_fma_f64 v[6:7], v[122:123], s[4:5], v[108:109]
	v_fma_f64 v[110:111], v[110:111], -0.5, v[120:121]
	v_fma_f64 v[112:113], v[122:123], s[2:3], v[118:119]
	v_add_f64 v[108:109], v[99:100], -v[94:95]
	v_add_f64 v[118:119], v[132:133], -v[114:115]
	v_fma_f64 v[68:69], v[140:141], s[4:5], v[138:139]
	v_mov_b32_e32 v105, v79
	v_add_f64 v[24:25], v[24:25], v[146:147]
	v_fma_f64 v[96:97], v[101:102], s[0:1], v[6:7]
	v_add_f64 v[6:7], v[14:15], v[144:145]
	v_fma_f64 v[124:125], v[122:123], s[10:11], v[110:111]
	v_fma_f64 v[8:9], v[101:102], s[0:1], v[112:113]
	;; [unrolled: 1-line block ×3, first 2 shown]
	v_add_f64 v[112:113], v[99:100], v[120:121]
	v_add_f64 v[102:103], v[108:109], v[118:119]
	v_fma_f64 v[118:119], v[126:127], -0.5, v[80:81]
	v_add_f64 v[120:121], v[94:95], -v[114:115]
	v_add_f64 v[98:99], v[99:100], -v[132:133]
	v_fma_f64 v[6:7], v[6:7], -0.5, v[80:81]
	v_add_f64 v[80:81], v[80:81], v[0:1]
	v_fma_f64 v[108:109], v[116:117], s[2:3], v[124:125]
	v_fma_f64 v[110:111], v[116:117], s[4:5], v[110:111]
	v_add_f64 v[94:95], v[94:95], v[112:113]
	v_add_f64 v[100:101], v[14:15], -v[0:1]
	v_add_f64 v[112:113], v[144:145], -v[72:73]
	v_fma_f64 v[116:117], v[120:121], s[10:11], v[118:119]
	v_fma_f64 v[118:119], v[120:121], s[6:7], v[118:119]
	v_add_f64 v[0:1], v[0:1], -v[14:15]
	v_add_f64 v[122:123], v[72:73], -v[144:145]
	v_fma_f64 v[124:125], v[98:99], s[6:7], v[6:7]
	v_fma_f64 v[6:7], v[98:99], s[10:11], v[6:7]
	v_add_f64 v[14:15], v[14:15], v[80:81]
	v_add_f64 v[80:81], v[114:115], v[94:95]
	v_add_f64 v[94:95], v[100:101], v[112:113]
	v_fma_f64 v[112:113], v[98:99], s[4:5], v[116:117]
	v_fma_f64 v[98:99], v[98:99], s[2:3], v[118:119]
	v_add_f64 v[0:1], v[0:1], v[122:123]
	v_fma_f64 v[116:117], v[120:121], s[4:5], v[124:125]
	v_fma_f64 v[118:119], v[120:121], s[2:3], v[6:7]
	v_add_f64 v[14:15], v[14:15], v[144:145]
	v_fma_f64 v[100:101], v[102:103], s[0:1], v[108:109]
	v_add_f64 v[114:115], v[132:133], v[80:81]
	v_fma_f64 v[6:7], v[94:95], s[0:1], v[112:113]
	v_fma_f64 v[94:95], v[94:95], s[0:1], v[98:99]
	;; [unrolled: 1-line block ×5, first 2 shown]
	v_add_f64 v[112:113], v[14:15], v[72:73]
	v_mov_b32_e32 v0, s13
	v_add_co_u32_e32 v14, vcc, s12, v106
	v_addc_co_u32_e32 v15, vcc, v0, v107, vcc
	v_lshlrev_b64 v[0:1], 4, v[104:105]
	v_fma_f64 v[68:69], v[136:137], s[0:1], v[68:69]
	v_add_co_u32_e32 v0, vcc, v14, v0
	v_addc_co_u32_e32 v1, vcc, v15, v1, vcc
	v_add_co_u32_e32 v14, vcc, s9, v0
	v_addc_co_u32_e32 v15, vcc, 0, v1, vcc
	s_movk_i32 s0, 0x2000
	v_add_co_u32_e32 v72, vcc, s0, v0
	v_addc_co_u32_e32 v73, vcc, 0, v1, vcc
	s_mov_b32 s2, 0x50150151
	global_store_dwordx4 v[0:1], v[112:115], off
	global_store_dwordx4 v[0:1], v[108:111], off offset:3120
	global_store_dwordx4 v[72:73], v[6:9], off offset:1168
	s_movk_i32 s1, 0x3000
	v_mul_hi_u32 v8, v160, s2
	v_add_co_u32_e32 v6, vcc, s1, v0
	v_addc_co_u32_e32 v7, vcc, 0, v1, vcc
	global_store_dwordx4 v[14:15], v[94:97], off offset:2144
	global_store_dwordx4 v[6:7], v[98:101], off offset:192
	;; [unrolled: 1-line block ×7, first 2 shown]
	v_sub_u32_e32 v6, v160, v8
	v_lshrrev_b32_e32 v6, 1, v6
	v_add_u32_e32 v6, v6, v8
	v_lshrrev_b32_e32 v6, 7, v6
	v_mul_u32_u24_e32 v78, 0x30c, v6
	v_lshlrev_b64 v[6:7], 4, v[78:79]
	s_movk_i32 s3, 0x4e0
	v_add_co_u32_e32 v6, vcc, v0, v6
	v_addc_co_u32_e32 v7, vcc, v1, v7, vcc
	v_add_co_u32_e32 v8, vcc, s3, v6
	v_addc_co_u32_e32 v9, vcc, 0, v7, vcc
	global_store_dwordx4 v[6:7], v[24:27], off offset:1248
	global_store_dwordx4 v[8:9], v[20:23], off offset:3120
	v_add_co_u32_e32 v8, vcc, s9, v6
	v_addc_co_u32_e32 v9, vcc, 0, v7, vcc
	global_store_dwordx4 v[8:9], v[2:5], off offset:3392
	s_movk_i32 s3, 0x750
	v_add_co_u32_e32 v2, vcc, s0, v6
	v_mul_hi_u32 v4, v161, s2
	v_addc_co_u32_e32 v3, vcc, 0, v7, vcc
	global_store_dwordx4 v[2:3], v[74:77], off offset:2416
	v_add_co_u32_e32 v2, vcc, s1, v6
	v_addc_co_u32_e32 v3, vcc, 0, v7, vcc
	global_store_dwordx4 v[2:3], v[10:13], off offset:1440
	v_sub_u32_e32 v2, v161, v4
	v_lshrrev_b32_e32 v2, 1, v2
	v_add_u32_e32 v2, v2, v4
	v_lshrrev_b32_e32 v2, 7, v2
	v_mul_u32_u24_e32 v78, 0x30c, v2
	v_lshlrev_b64 v[2:3], 4, v[78:79]
	v_add_co_u32_e32 v2, vcc, v0, v2
	v_addc_co_u32_e32 v3, vcc, v1, v3, vcc
	v_add_co_u32_e32 v4, vcc, s3, v2
	v_addc_co_u32_e32 v5, vcc, 0, v3, vcc
	global_store_dwordx4 v[2:3], v[64:67], off offset:1872
	global_store_dwordx4 v[4:5], v[60:63], off offset:3120
	v_add_co_u32_e32 v4, vcc, s9, v2
	v_addc_co_u32_e32 v5, vcc, 0, v3, vcc
	global_store_dwordx4 v[4:5], v[56:59], off offset:4016
	v_add_co_u32_e32 v4, vcc, s0, v2
	v_addc_co_u32_e32 v5, vcc, 0, v3, vcc
	global_store_dwordx4 v[4:5], v[52:55], off offset:3040
	v_mul_hi_u32 v4, v162, s2
	v_add_co_u32_e32 v2, vcc, s1, v2
	v_addc_co_u32_e32 v3, vcc, 0, v3, vcc
	global_store_dwordx4 v[2:3], v[48:51], off offset:2064
	v_sub_u32_e32 v2, v162, v4
	v_lshrrev_b32_e32 v2, 1, v2
	v_add_u32_e32 v2, v2, v4
	v_lshrrev_b32_e32 v2, 7, v2
	v_mul_u32_u24_e32 v78, 0x30c, v2
	v_lshlrev_b64 v[2:3], 4, v[78:79]
	v_add_co_u32_e32 v0, vcc, v0, v2
	v_addc_co_u32_e32 v1, vcc, v1, v3, vcc
	v_add_co_u32_e32 v2, vcc, 0x9c0, v0
	v_addc_co_u32_e32 v3, vcc, 0, v1, vcc
	global_store_dwordx4 v[0:1], v[44:47], off offset:2496
	global_store_dwordx4 v[2:3], v[40:43], off offset:3120
	v_add_co_u32_e32 v2, vcc, 0x2000, v0
	v_addc_co_u32_e32 v3, vcc, 0, v1, vcc
	v_add_co_u32_e32 v0, vcc, 0x3000, v0
	v_addc_co_u32_e32 v1, vcc, 0, v1, vcc
	global_store_dwordx4 v[2:3], v[36:39], off offset:544
	global_store_dwordx4 v[2:3], v[32:35], off offset:3664
	;; [unrolled: 1-line block ×3, first 2 shown]
.LBB0_26:
	s_endpgm
	.section	.rodata,"a",@progbits
	.p2align	6, 0x0
	.amdhsa_kernel fft_rtc_back_len975_factors_13_5_3_5_wgs_117_tpt_39_halfLds_dp_ip_CI_unitstride_sbrr_dirReg
		.amdhsa_group_segment_fixed_size 0
		.amdhsa_private_segment_fixed_size 0
		.amdhsa_kernarg_size 88
		.amdhsa_user_sgpr_count 6
		.amdhsa_user_sgpr_private_segment_buffer 1
		.amdhsa_user_sgpr_dispatch_ptr 0
		.amdhsa_user_sgpr_queue_ptr 0
		.amdhsa_user_sgpr_kernarg_segment_ptr 1
		.amdhsa_user_sgpr_dispatch_id 0
		.amdhsa_user_sgpr_flat_scratch_init 0
		.amdhsa_user_sgpr_private_segment_size 0
		.amdhsa_uses_dynamic_stack 0
		.amdhsa_system_sgpr_private_segment_wavefront_offset 0
		.amdhsa_system_sgpr_workgroup_id_x 1
		.amdhsa_system_sgpr_workgroup_id_y 0
		.amdhsa_system_sgpr_workgroup_id_z 0
		.amdhsa_system_sgpr_workgroup_info 0
		.amdhsa_system_vgpr_workitem_id 0
		.amdhsa_next_free_vgpr 244
		.amdhsa_next_free_sgpr 46
		.amdhsa_reserve_vcc 1
		.amdhsa_reserve_flat_scratch 0
		.amdhsa_float_round_mode_32 0
		.amdhsa_float_round_mode_16_64 0
		.amdhsa_float_denorm_mode_32 3
		.amdhsa_float_denorm_mode_16_64 3
		.amdhsa_dx10_clamp 1
		.amdhsa_ieee_mode 1
		.amdhsa_fp16_overflow 0
		.amdhsa_exception_fp_ieee_invalid_op 0
		.amdhsa_exception_fp_denorm_src 0
		.amdhsa_exception_fp_ieee_div_zero 0
		.amdhsa_exception_fp_ieee_overflow 0
		.amdhsa_exception_fp_ieee_underflow 0
		.amdhsa_exception_fp_ieee_inexact 0
		.amdhsa_exception_int_div_zero 0
	.end_amdhsa_kernel
	.text
.Lfunc_end0:
	.size	fft_rtc_back_len975_factors_13_5_3_5_wgs_117_tpt_39_halfLds_dp_ip_CI_unitstride_sbrr_dirReg, .Lfunc_end0-fft_rtc_back_len975_factors_13_5_3_5_wgs_117_tpt_39_halfLds_dp_ip_CI_unitstride_sbrr_dirReg
                                        ; -- End function
	.section	.AMDGPU.csdata,"",@progbits
; Kernel info:
; codeLenInByte = 20156
; NumSgprs: 50
; NumVgprs: 244
; ScratchSize: 0
; MemoryBound: 1
; FloatMode: 240
; IeeeMode: 1
; LDSByteSize: 0 bytes/workgroup (compile time only)
; SGPRBlocks: 6
; VGPRBlocks: 60
; NumSGPRsForWavesPerEU: 50
; NumVGPRsForWavesPerEU: 244
; Occupancy: 1
; WaveLimiterHint : 1
; COMPUTE_PGM_RSRC2:SCRATCH_EN: 0
; COMPUTE_PGM_RSRC2:USER_SGPR: 6
; COMPUTE_PGM_RSRC2:TRAP_HANDLER: 0
; COMPUTE_PGM_RSRC2:TGID_X_EN: 1
; COMPUTE_PGM_RSRC2:TGID_Y_EN: 0
; COMPUTE_PGM_RSRC2:TGID_Z_EN: 0
; COMPUTE_PGM_RSRC2:TIDIG_COMP_CNT: 0
	.type	__hip_cuid_f0f87ad481e741db,@object ; @__hip_cuid_f0f87ad481e741db
	.section	.bss,"aw",@nobits
	.globl	__hip_cuid_f0f87ad481e741db
__hip_cuid_f0f87ad481e741db:
	.byte	0                               ; 0x0
	.size	__hip_cuid_f0f87ad481e741db, 1

	.ident	"AMD clang version 19.0.0git (https://github.com/RadeonOpenCompute/llvm-project roc-6.4.0 25133 c7fe45cf4b819c5991fe208aaa96edf142730f1d)"
	.section	".note.GNU-stack","",@progbits
	.addrsig
	.addrsig_sym __hip_cuid_f0f87ad481e741db
	.amdgpu_metadata
---
amdhsa.kernels:
  - .args:
      - .actual_access:  read_only
        .address_space:  global
        .offset:         0
        .size:           8
        .value_kind:     global_buffer
      - .offset:         8
        .size:           8
        .value_kind:     by_value
      - .actual_access:  read_only
        .address_space:  global
        .offset:         16
        .size:           8
        .value_kind:     global_buffer
      - .actual_access:  read_only
        .address_space:  global
        .offset:         24
        .size:           8
        .value_kind:     global_buffer
      - .offset:         32
        .size:           8
        .value_kind:     by_value
      - .actual_access:  read_only
        .address_space:  global
        .offset:         40
        .size:           8
        .value_kind:     global_buffer
      - .actual_access:  read_only
        .address_space:  global
        .offset:         48
        .size:           8
        .value_kind:     global_buffer
      - .offset:         56
        .size:           4
        .value_kind:     by_value
      - .actual_access:  read_only
        .address_space:  global
        .offset:         64
        .size:           8
        .value_kind:     global_buffer
      - .actual_access:  read_only
        .address_space:  global
        .offset:         72
        .size:           8
        .value_kind:     global_buffer
      - .address_space:  global
        .offset:         80
        .size:           8
        .value_kind:     global_buffer
    .group_segment_fixed_size: 0
    .kernarg_segment_align: 8
    .kernarg_segment_size: 88
    .language:       OpenCL C
    .language_version:
      - 2
      - 0
    .max_flat_workgroup_size: 117
    .name:           fft_rtc_back_len975_factors_13_5_3_5_wgs_117_tpt_39_halfLds_dp_ip_CI_unitstride_sbrr_dirReg
    .private_segment_fixed_size: 0
    .sgpr_count:     50
    .sgpr_spill_count: 0
    .symbol:         fft_rtc_back_len975_factors_13_5_3_5_wgs_117_tpt_39_halfLds_dp_ip_CI_unitstride_sbrr_dirReg.kd
    .uniform_work_group_size: 1
    .uses_dynamic_stack: false
    .vgpr_count:     244
    .vgpr_spill_count: 0
    .wavefront_size: 64
amdhsa.target:   amdgcn-amd-amdhsa--gfx906
amdhsa.version:
  - 1
  - 2
...

	.end_amdgpu_metadata
